;; amdgpu-corpus repo=ROCm/rocFFT kind=compiled arch=gfx1201 opt=O3
	.text
	.amdgcn_target "amdgcn-amd-amdhsa--gfx1201"
	.amdhsa_code_object_version 6
	.protected	fft_rtc_fwd_len2880_factors_10_6_6_2_2_2_wgs_96_tpt_96_halfLds_dp_ip_CI_unitstride_sbrr_C2R_dirReg ; -- Begin function fft_rtc_fwd_len2880_factors_10_6_6_2_2_2_wgs_96_tpt_96_halfLds_dp_ip_CI_unitstride_sbrr_C2R_dirReg
	.globl	fft_rtc_fwd_len2880_factors_10_6_6_2_2_2_wgs_96_tpt_96_halfLds_dp_ip_CI_unitstride_sbrr_C2R_dirReg
	.p2align	8
	.type	fft_rtc_fwd_len2880_factors_10_6_6_2_2_2_wgs_96_tpt_96_halfLds_dp_ip_CI_unitstride_sbrr_C2R_dirReg,@function
fft_rtc_fwd_len2880_factors_10_6_6_2_2_2_wgs_96_tpt_96_halfLds_dp_ip_CI_unitstride_sbrr_C2R_dirReg: ; @fft_rtc_fwd_len2880_factors_10_6_6_2_2_2_wgs_96_tpt_96_halfLds_dp_ip_CI_unitstride_sbrr_C2R_dirReg
; %bb.0:
	s_clause 0x2
	s_load_b128 s[4:7], s[0:1], 0x0
	s_load_b64 s[8:9], s[0:1], 0x50
	s_load_b64 s[10:11], s[0:1], 0x18
	v_mul_u32_u24_e32 v1, 0x2ab, v0
	v_mov_b32_e32 v3, 0
	s_delay_alu instid0(VALU_DEP_2) | instskip(NEXT) | instid1(VALU_DEP_1)
	v_lshrrev_b32_e32 v1, 16, v1
	v_add_nc_u32_e32 v5, ttmp9, v1
	v_mov_b32_e32 v1, 0
	v_mov_b32_e32 v2, 0
	;; [unrolled: 1-line block ×3, first 2 shown]
	s_wait_kmcnt 0x0
	v_cmp_lt_u64_e64 s2, s[6:7], 2
	s_delay_alu instid0(VALU_DEP_1)
	s_and_b32 vcc_lo, exec_lo, s2
	s_cbranch_vccnz .LBB0_8
; %bb.1:
	s_load_b64 s[2:3], s[0:1], 0x10
	v_mov_b32_e32 v1, 0
	v_mov_b32_e32 v2, 0
	s_add_nc_u64 s[12:13], s[10:11], 8
	s_mov_b64 s[14:15], 1
	s_wait_kmcnt 0x0
	s_add_nc_u64 s[16:17], s[2:3], 8
	s_mov_b32 s3, 0
.LBB0_2:                                ; =>This Inner Loop Header: Depth=1
	s_load_b64 s[18:19], s[16:17], 0x0
                                        ; implicit-def: $vgpr7_vgpr8
	s_mov_b32 s2, exec_lo
	s_wait_kmcnt 0x0
	v_or_b32_e32 v4, s19, v6
	s_delay_alu instid0(VALU_DEP_1)
	v_cmpx_ne_u64_e32 0, v[3:4]
	s_wait_alu 0xfffe
	s_xor_b32 s20, exec_lo, s2
	s_cbranch_execz .LBB0_4
; %bb.3:                                ;   in Loop: Header=BB0_2 Depth=1
	s_cvt_f32_u32 s2, s18
	s_cvt_f32_u32 s21, s19
	s_sub_nc_u64 s[24:25], 0, s[18:19]
	s_wait_alu 0xfffe
	s_delay_alu instid0(SALU_CYCLE_1) | instskip(SKIP_1) | instid1(SALU_CYCLE_2)
	s_fmamk_f32 s2, s21, 0x4f800000, s2
	s_wait_alu 0xfffe
	v_s_rcp_f32 s2, s2
	s_delay_alu instid0(TRANS32_DEP_1) | instskip(SKIP_1) | instid1(SALU_CYCLE_2)
	s_mul_f32 s2, s2, 0x5f7ffffc
	s_wait_alu 0xfffe
	s_mul_f32 s21, s2, 0x2f800000
	s_wait_alu 0xfffe
	s_delay_alu instid0(SALU_CYCLE_2) | instskip(SKIP_1) | instid1(SALU_CYCLE_2)
	s_trunc_f32 s21, s21
	s_wait_alu 0xfffe
	s_fmamk_f32 s2, s21, 0xcf800000, s2
	s_cvt_u32_f32 s23, s21
	s_wait_alu 0xfffe
	s_delay_alu instid0(SALU_CYCLE_1) | instskip(SKIP_1) | instid1(SALU_CYCLE_2)
	s_cvt_u32_f32 s22, s2
	s_wait_alu 0xfffe
	s_mul_u64 s[26:27], s[24:25], s[22:23]
	s_wait_alu 0xfffe
	s_mul_hi_u32 s29, s22, s27
	s_mul_i32 s28, s22, s27
	s_mul_hi_u32 s2, s22, s26
	s_mul_i32 s30, s23, s26
	s_wait_alu 0xfffe
	s_add_nc_u64 s[28:29], s[2:3], s[28:29]
	s_mul_hi_u32 s21, s23, s26
	s_mul_hi_u32 s31, s23, s27
	s_add_co_u32 s2, s28, s30
	s_wait_alu 0xfffe
	s_add_co_ci_u32 s2, s29, s21
	s_mul_i32 s26, s23, s27
	s_add_co_ci_u32 s27, s31, 0
	s_wait_alu 0xfffe
	s_add_nc_u64 s[26:27], s[2:3], s[26:27]
	s_wait_alu 0xfffe
	v_add_co_u32 v4, s2, s22, s26
	s_delay_alu instid0(VALU_DEP_1) | instskip(SKIP_1) | instid1(VALU_DEP_1)
	s_cmp_lg_u32 s2, 0
	s_add_co_ci_u32 s23, s23, s27
	v_readfirstlane_b32 s22, v4
	s_wait_alu 0xfffe
	s_delay_alu instid0(VALU_DEP_1)
	s_mul_u64 s[24:25], s[24:25], s[22:23]
	s_wait_alu 0xfffe
	s_mul_hi_u32 s27, s22, s25
	s_mul_i32 s26, s22, s25
	s_mul_hi_u32 s2, s22, s24
	s_mul_i32 s28, s23, s24
	s_wait_alu 0xfffe
	s_add_nc_u64 s[26:27], s[2:3], s[26:27]
	s_mul_hi_u32 s21, s23, s24
	s_mul_hi_u32 s22, s23, s25
	s_wait_alu 0xfffe
	s_add_co_u32 s2, s26, s28
	s_add_co_ci_u32 s2, s27, s21
	s_mul_i32 s24, s23, s25
	s_add_co_ci_u32 s25, s22, 0
	s_wait_alu 0xfffe
	s_add_nc_u64 s[24:25], s[2:3], s[24:25]
	s_wait_alu 0xfffe
	v_add_co_u32 v4, s2, v4, s24
	s_delay_alu instid0(VALU_DEP_1) | instskip(SKIP_1) | instid1(VALU_DEP_1)
	s_cmp_lg_u32 s2, 0
	s_add_co_ci_u32 s2, s23, s25
	v_mul_hi_u32 v13, v5, v4
	s_wait_alu 0xfffe
	v_mad_co_u64_u32 v[7:8], null, v5, s2, 0
	v_mad_co_u64_u32 v[9:10], null, v6, v4, 0
	;; [unrolled: 1-line block ×3, first 2 shown]
	s_delay_alu instid0(VALU_DEP_3) | instskip(SKIP_1) | instid1(VALU_DEP_4)
	v_add_co_u32 v4, vcc_lo, v13, v7
	s_wait_alu 0xfffd
	v_add_co_ci_u32_e32 v7, vcc_lo, 0, v8, vcc_lo
	s_delay_alu instid0(VALU_DEP_2) | instskip(SKIP_1) | instid1(VALU_DEP_2)
	v_add_co_u32 v4, vcc_lo, v4, v9
	s_wait_alu 0xfffd
	v_add_co_ci_u32_e32 v4, vcc_lo, v7, v10, vcc_lo
	s_wait_alu 0xfffd
	v_add_co_ci_u32_e32 v7, vcc_lo, 0, v12, vcc_lo
	s_delay_alu instid0(VALU_DEP_2) | instskip(SKIP_1) | instid1(VALU_DEP_2)
	v_add_co_u32 v4, vcc_lo, v4, v11
	s_wait_alu 0xfffd
	v_add_co_ci_u32_e32 v9, vcc_lo, 0, v7, vcc_lo
	s_delay_alu instid0(VALU_DEP_2) | instskip(SKIP_1) | instid1(VALU_DEP_3)
	v_mul_lo_u32 v10, s19, v4
	v_mad_co_u64_u32 v[7:8], null, s18, v4, 0
	v_mul_lo_u32 v11, s18, v9
	s_delay_alu instid0(VALU_DEP_2) | instskip(NEXT) | instid1(VALU_DEP_2)
	v_sub_co_u32 v7, vcc_lo, v5, v7
	v_add3_u32 v8, v8, v11, v10
	s_delay_alu instid0(VALU_DEP_1) | instskip(SKIP_1) | instid1(VALU_DEP_1)
	v_sub_nc_u32_e32 v10, v6, v8
	s_wait_alu 0xfffd
	v_subrev_co_ci_u32_e64 v10, s2, s19, v10, vcc_lo
	v_add_co_u32 v11, s2, v4, 2
	s_wait_alu 0xf1ff
	v_add_co_ci_u32_e64 v12, s2, 0, v9, s2
	v_sub_co_u32 v13, s2, v7, s18
	v_sub_co_ci_u32_e32 v8, vcc_lo, v6, v8, vcc_lo
	s_wait_alu 0xf1ff
	v_subrev_co_ci_u32_e64 v10, s2, 0, v10, s2
	s_delay_alu instid0(VALU_DEP_3) | instskip(NEXT) | instid1(VALU_DEP_3)
	v_cmp_le_u32_e32 vcc_lo, s18, v13
	v_cmp_eq_u32_e64 s2, s19, v8
	s_wait_alu 0xfffd
	v_cndmask_b32_e64 v13, 0, -1, vcc_lo
	v_cmp_le_u32_e32 vcc_lo, s19, v10
	s_wait_alu 0xfffd
	v_cndmask_b32_e64 v14, 0, -1, vcc_lo
	v_cmp_le_u32_e32 vcc_lo, s18, v7
	;; [unrolled: 3-line block ×3, first 2 shown]
	s_wait_alu 0xfffd
	v_cndmask_b32_e64 v15, 0, -1, vcc_lo
	v_cmp_eq_u32_e32 vcc_lo, s19, v10
	s_wait_alu 0xf1ff
	s_delay_alu instid0(VALU_DEP_2)
	v_cndmask_b32_e64 v7, v15, v7, s2
	s_wait_alu 0xfffd
	v_cndmask_b32_e32 v10, v14, v13, vcc_lo
	v_add_co_u32 v13, vcc_lo, v4, 1
	s_wait_alu 0xfffd
	v_add_co_ci_u32_e32 v14, vcc_lo, 0, v9, vcc_lo
	s_delay_alu instid0(VALU_DEP_3) | instskip(SKIP_2) | instid1(VALU_DEP_3)
	v_cmp_ne_u32_e32 vcc_lo, 0, v10
	s_wait_alu 0xfffd
	v_cndmask_b32_e32 v10, v13, v11, vcc_lo
	v_cndmask_b32_e32 v8, v14, v12, vcc_lo
	v_cmp_ne_u32_e32 vcc_lo, 0, v7
	s_wait_alu 0xfffd
	s_delay_alu instid0(VALU_DEP_2)
	v_dual_cndmask_b32 v7, v4, v10 :: v_dual_cndmask_b32 v8, v9, v8
.LBB0_4:                                ;   in Loop: Header=BB0_2 Depth=1
	s_wait_alu 0xfffe
	s_and_not1_saveexec_b32 s2, s20
	s_cbranch_execz .LBB0_6
; %bb.5:                                ;   in Loop: Header=BB0_2 Depth=1
	v_cvt_f32_u32_e32 v4, s18
	s_sub_co_i32 s20, 0, s18
	s_delay_alu instid0(VALU_DEP_1) | instskip(NEXT) | instid1(TRANS32_DEP_1)
	v_rcp_iflag_f32_e32 v4, v4
	v_mul_f32_e32 v4, 0x4f7ffffe, v4
	s_delay_alu instid0(VALU_DEP_1) | instskip(SKIP_1) | instid1(VALU_DEP_1)
	v_cvt_u32_f32_e32 v4, v4
	s_wait_alu 0xfffe
	v_mul_lo_u32 v7, s20, v4
	s_delay_alu instid0(VALU_DEP_1) | instskip(NEXT) | instid1(VALU_DEP_1)
	v_mul_hi_u32 v7, v4, v7
	v_add_nc_u32_e32 v4, v4, v7
	s_delay_alu instid0(VALU_DEP_1) | instskip(NEXT) | instid1(VALU_DEP_1)
	v_mul_hi_u32 v4, v5, v4
	v_mul_lo_u32 v7, v4, s18
	v_add_nc_u32_e32 v8, 1, v4
	s_delay_alu instid0(VALU_DEP_2) | instskip(NEXT) | instid1(VALU_DEP_1)
	v_sub_nc_u32_e32 v7, v5, v7
	v_subrev_nc_u32_e32 v9, s18, v7
	v_cmp_le_u32_e32 vcc_lo, s18, v7
	s_wait_alu 0xfffd
	s_delay_alu instid0(VALU_DEP_2) | instskip(NEXT) | instid1(VALU_DEP_1)
	v_dual_cndmask_b32 v7, v7, v9 :: v_dual_cndmask_b32 v4, v4, v8
	v_cmp_le_u32_e32 vcc_lo, s18, v7
	s_delay_alu instid0(VALU_DEP_2) | instskip(SKIP_1) | instid1(VALU_DEP_1)
	v_add_nc_u32_e32 v8, 1, v4
	s_wait_alu 0xfffd
	v_dual_cndmask_b32 v7, v4, v8 :: v_dual_mov_b32 v8, v3
.LBB0_6:                                ;   in Loop: Header=BB0_2 Depth=1
	s_wait_alu 0xfffe
	s_or_b32 exec_lo, exec_lo, s2
	s_load_b64 s[20:21], s[12:13], 0x0
	s_delay_alu instid0(VALU_DEP_1)
	v_mul_lo_u32 v4, v8, s18
	v_mul_lo_u32 v11, v7, s19
	v_mad_co_u64_u32 v[9:10], null, v7, s18, 0
	s_add_nc_u64 s[14:15], s[14:15], 1
	s_add_nc_u64 s[12:13], s[12:13], 8
	s_wait_alu 0xfffe
	v_cmp_ge_u64_e64 s2, s[14:15], s[6:7]
	s_add_nc_u64 s[16:17], s[16:17], 8
	s_delay_alu instid0(VALU_DEP_2) | instskip(NEXT) | instid1(VALU_DEP_3)
	v_add3_u32 v4, v10, v11, v4
	v_sub_co_u32 v5, vcc_lo, v5, v9
	s_wait_alu 0xfffd
	s_delay_alu instid0(VALU_DEP_2) | instskip(SKIP_3) | instid1(VALU_DEP_2)
	v_sub_co_ci_u32_e32 v4, vcc_lo, v6, v4, vcc_lo
	s_and_b32 vcc_lo, exec_lo, s2
	s_wait_kmcnt 0x0
	v_mul_lo_u32 v6, s21, v5
	v_mul_lo_u32 v4, s20, v4
	v_mad_co_u64_u32 v[1:2], null, s20, v5, v[1:2]
	s_delay_alu instid0(VALU_DEP_1)
	v_add3_u32 v2, v6, v2, v4
	s_wait_alu 0xfffe
	s_cbranch_vccnz .LBB0_9
; %bb.7:                                ;   in Loop: Header=BB0_2 Depth=1
	v_dual_mov_b32 v5, v7 :: v_dual_mov_b32 v6, v8
	s_branch .LBB0_2
.LBB0_8:
	v_dual_mov_b32 v8, v6 :: v_dual_mov_b32 v7, v5
.LBB0_9:
	s_lshl_b64 s[2:3], s[6:7], 3
	v_mul_hi_u32 v3, 0x2aaaaab, v0
	s_wait_alu 0xfffe
	s_add_nc_u64 s[2:3], s[10:11], s[2:3]
	s_load_b64 s[2:3], s[2:3], 0x0
	s_load_b64 s[0:1], s[0:1], 0x20
	s_delay_alu instid0(VALU_DEP_1)
	v_mul_u32_u24_e32 v3, 0x60, v3
	s_wait_kmcnt 0x0
	v_mul_lo_u32 v4, s2, v8
	v_mul_lo_u32 v5, s3, v7
	v_mad_co_u64_u32 v[1:2], null, s2, v7, v[1:2]
	v_cmp_gt_u64_e32 vcc_lo, s[0:1], v[7:8]
	s_delay_alu instid0(VALU_DEP_2) | instskip(SKIP_2) | instid1(VALU_DEP_3)
	v_add3_u32 v2, v5, v2, v4
	v_sub_nc_u32_e32 v4, v0, v3
	v_mov_b32_e32 v5, 0
	v_lshlrev_b64_e32 v[0:1], 4, v[1:2]
	s_delay_alu instid0(VALU_DEP_3)
	v_mov_b32_e32 v104, v4
	scratch_store_b64 off, v[0:1], off      ; 8-byte Folded Spill
	s_and_saveexec_b32 s1, vcc_lo
	s_cbranch_execz .LBB0_13
; %bb.10:
	scratch_load_b64 v[0:1], off, off       ; 8-byte Folded Reload
	v_lshlrev_b64_e32 v[2:3], 4, v[4:5]
	v_lshl_add_u32 v106, v4, 4, 0
	s_wait_loadcnt 0x0
	v_add_co_u32 v0, s0, s8, v0
	s_wait_alu 0xf1ff
	v_add_co_ci_u32_e64 v1, s0, s9, v1, s0
	s_delay_alu instid0(VALU_DEP_2) | instskip(SKIP_1) | instid1(VALU_DEP_2)
	v_add_co_u32 v2, s0, v0, v2
	s_wait_alu 0xf1ff
	v_add_co_ci_u32_e64 v3, s0, v1, v3, s0
	v_cmp_eq_u32_e64 s0, 0x5f, v4
	s_clause 0x1d
	global_load_b128 v[6:9], v[2:3], off
	global_load_b128 v[10:13], v[2:3], off offset:1536
	global_load_b128 v[14:17], v[2:3], off offset:3072
	;; [unrolled: 1-line block ×29, first 2 shown]
	v_dual_mov_b32 v2, v4 :: v_dual_mov_b32 v3, v5
	s_wait_loadcnt 0x1d
	ds_store_b128 v106, v[6:9]
	s_wait_loadcnt 0x1c
	ds_store_b128 v106, v[10:13] offset:1536
	s_wait_loadcnt 0x1b
	ds_store_b128 v106, v[14:17] offset:3072
	;; [unrolled: 2-line block ×29, first 2 shown]
	s_and_saveexec_b32 s2, s0
	s_cbranch_execz .LBB0_12
; %bb.11:
	global_load_b128 v[5:8], v[0:1], off offset:46080
	v_mov_b32_e32 v2, 0x5f
	v_dual_mov_b32 v0, 0 :: v_dual_mov_b32 v3, 0
	v_mov_b32_e32 v4, 0x5f
	s_wait_loadcnt 0x0
	ds_store_b128 v0, v[5:8] offset:46080
.LBB0_12:
	s_wait_alu 0xfffe
	s_or_b32 exec_lo, exec_lo, s2
	v_dual_mov_b32 v104, v4 :: v_dual_mov_b32 v5, v3
	v_mov_b32_e32 v4, v2
.LBB0_13:
	s_wait_alu 0xfffe
	s_or_b32 exec_lo, exec_lo, s1
	s_delay_alu instid0(VALU_DEP_2)
	v_lshlrev_b32_e32 v0, 4, v104
	global_wb scope:SCOPE_SE
	s_wait_storecnt_dscnt 0x0
	s_barrier_signal -1
	s_barrier_wait -1
	global_inv scope:SCOPE_SE
	v_add_nc_u32_e32 v236, 0, v0
	v_sub_nc_u32_e32 v10, 0, v0
	v_lshlrev_b64_e32 v[19:20], 4, v[4:5]
	s_mov_b32 s1, exec_lo
	ds_load_b64 v[6:7], v236
	ds_load_b64 v[8:9], v10 offset:46080
	s_wait_dscnt 0x0
	v_add_f64_e32 v[0:1], v[6:7], v[8:9]
	v_add_f64_e64 v[2:3], v[6:7], -v[8:9]
	v_cmpx_ne_u32_e32 0, v104
	s_wait_alu 0xfffe
	s_xor_b32 s1, exec_lo, s1
	s_cbranch_execz .LBB0_15
; %bb.14:
	v_add_co_u32 v0, s0, s4, v19
	s_wait_alu 0xf1ff
	v_add_co_ci_u32_e64 v1, s0, s5, v20, s0
	v_add_f64_e32 v[13:14], v[6:7], v[8:9]
	v_add_f64_e64 v[8:9], v[6:7], -v[8:9]
	global_load_b128 v[2:5], v[0:1], off offset:45920
	ds_load_b64 v[0:1], v10 offset:46088
	ds_load_b64 v[11:12], v236 offset:8
	s_wait_dscnt 0x0
	v_add_f64_e32 v[6:7], v[0:1], v[11:12]
	v_add_f64_e64 v[0:1], v[11:12], -v[0:1]
	s_wait_loadcnt 0x0
	v_fma_f64 v[11:12], v[8:9], v[4:5], v[13:14]
	v_fma_f64 v[13:14], -v[8:9], v[4:5], v[13:14]
	s_delay_alu instid0(VALU_DEP_3) | instskip(SKIP_1) | instid1(VALU_DEP_4)
	v_fma_f64 v[15:16], v[6:7], v[4:5], -v[0:1]
	v_fma_f64 v[17:18], v[6:7], v[4:5], v[0:1]
	v_fma_f64 v[0:1], -v[6:7], v[2:3], v[11:12]
	s_delay_alu instid0(VALU_DEP_4) | instskip(NEXT) | instid1(VALU_DEP_4)
	v_fma_f64 v[4:5], v[6:7], v[2:3], v[13:14]
	v_fma_f64 v[6:7], v[8:9], v[2:3], v[15:16]
	s_delay_alu instid0(VALU_DEP_4)
	v_fma_f64 v[2:3], v[8:9], v[2:3], v[17:18]
	ds_store_b128 v10, v[4:7] offset:46080
.LBB0_15:
	s_wait_alu 0xfffe
	s_or_saveexec_b32 s0, s1
	scratch_store_b64 off, v[19:20], off offset:8 ; 8-byte Folded Spill
	s_wait_alu 0xfffe
	s_xor_b32 exec_lo, exec_lo, s0
	s_cbranch_execz .LBB0_17
; %bb.16:
	v_mov_b32_e32 v8, 0
	ds_load_b128 v[4:7], v8 offset:23040
	s_wait_dscnt 0x0
	v_add_f64_e32 v[4:5], v[4:5], v[4:5]
	v_mul_f64_e32 v[6:7], -2.0, v[6:7]
	ds_store_b128 v8, v[4:7] offset:23040
.LBB0_17:
	s_or_b32 exec_lo, exec_lo, s0
	v_mov_b32_e32 v105, 0
	s_add_nc_u64 s[0:1], s[4:5], 0xb360
	s_mov_b32 s7, 0xbfee6f0e
	s_mov_b32 s2, 0x4755a5e
	;; [unrolled: 1-line block ×3, first 2 shown]
	v_lshlrev_b64_e32 v[102:103], 4, v[104:105]
	s_mov_b32 s13, 0xbfe2cf23
	s_wait_alu 0xfffe
	s_mov_b32 s12, s2
	s_mov_b32 s10, 0x372fe950
	;; [unrolled: 1-line block ×4, first 2 shown]
	v_add_co_u32 v4, s0, s0, v102
	s_wait_alu 0xf1ff
	v_add_co_ci_u32_e64 v5, s0, s1, v103, s0
	s_mov_b32 s0, 0x134454ff
	s_mov_b32 s1, 0x3fee6f0e
	s_wait_alu 0xfffe
	s_mov_b32 s6, s0
	s_clause 0x1
	global_load_b128 v[6:9], v[4:5], off offset:1536
	global_load_b128 v[11:14], v[4:5], off offset:3072
	ds_store_b128 v236, v[0:3]
	ds_load_b128 v[0:3], v236 offset:1536
	ds_load_b128 v[15:18], v10 offset:44544
	global_load_b128 v[19:22], v[4:5], off offset:4608
	s_mov_b32 s15, 0x3fe9e377
	s_wait_dscnt 0x0
	v_add_f64_e32 v[23:24], v[0:1], v[15:16]
	v_add_f64_e32 v[25:26], v[17:18], v[2:3]
	v_add_f64_e64 v[27:28], v[0:1], -v[15:16]
	v_add_f64_e64 v[0:1], v[2:3], -v[17:18]
	s_wait_loadcnt 0x2
	s_delay_alu instid0(VALU_DEP_2) | instskip(NEXT) | instid1(VALU_DEP_2)
	v_fma_f64 v[2:3], v[27:28], v[8:9], v[23:24]
	v_fma_f64 v[15:16], v[25:26], v[8:9], v[0:1]
	v_fma_f64 v[17:18], -v[27:28], v[8:9], v[23:24]
	v_fma_f64 v[8:9], v[25:26], v[8:9], -v[0:1]
	s_delay_alu instid0(VALU_DEP_4) | instskip(NEXT) | instid1(VALU_DEP_4)
	v_fma_f64 v[0:1], -v[25:26], v[6:7], v[2:3]
	v_fma_f64 v[2:3], v[27:28], v[6:7], v[15:16]
	s_delay_alu instid0(VALU_DEP_4) | instskip(NEXT) | instid1(VALU_DEP_4)
	v_fma_f64 v[15:16], v[25:26], v[6:7], v[17:18]
	v_fma_f64 v[17:18], v[27:28], v[6:7], v[8:9]
	ds_store_b128 v236, v[0:3] offset:1536
	ds_store_b128 v10, v[15:18] offset:44544
	ds_load_b128 v[0:3], v236 offset:3072
	ds_load_b128 v[6:9], v10 offset:43008
	global_load_b128 v[15:18], v[4:5], off offset:6144
	s_wait_dscnt 0x0
	v_add_f64_e32 v[23:24], v[0:1], v[6:7]
	v_add_f64_e32 v[25:26], v[8:9], v[2:3]
	v_add_f64_e64 v[27:28], v[0:1], -v[6:7]
	v_add_f64_e64 v[0:1], v[2:3], -v[8:9]
	s_wait_loadcnt 0x2
	s_delay_alu instid0(VALU_DEP_2) | instskip(NEXT) | instid1(VALU_DEP_2)
	v_fma_f64 v[2:3], v[27:28], v[13:14], v[23:24]
	v_fma_f64 v[6:7], v[25:26], v[13:14], v[0:1]
	v_fma_f64 v[8:9], -v[27:28], v[13:14], v[23:24]
	v_fma_f64 v[13:14], v[25:26], v[13:14], -v[0:1]
	s_delay_alu instid0(VALU_DEP_4) | instskip(NEXT) | instid1(VALU_DEP_4)
	v_fma_f64 v[0:1], -v[25:26], v[11:12], v[2:3]
	v_fma_f64 v[2:3], v[27:28], v[11:12], v[6:7]
	s_delay_alu instid0(VALU_DEP_4) | instskip(NEXT) | instid1(VALU_DEP_4)
	v_fma_f64 v[6:7], v[25:26], v[11:12], v[8:9]
	v_fma_f64 v[8:9], v[27:28], v[11:12], v[13:14]
	ds_store_b128 v236, v[0:3] offset:3072
	ds_store_b128 v10, v[6:9] offset:43008
	ds_load_b128 v[0:3], v236 offset:4608
	ds_load_b128 v[6:9], v10 offset:41472
	global_load_b128 v[11:14], v[4:5], off offset:7680
	;; [unrolled: 22-line block ×11, first 2 shown]
	s_wait_dscnt 0x0
	v_add_f64_e32 v[4:5], v[0:1], v[6:7]
	v_add_f64_e32 v[23:24], v[8:9], v[2:3]
	v_add_f64_e64 v[6:7], v[0:1], -v[6:7]
	v_add_f64_e64 v[0:1], v[2:3], -v[8:9]
	s_wait_loadcnt 0x2
	s_delay_alu instid0(VALU_DEP_2) | instskip(NEXT) | instid1(VALU_DEP_2)
	v_fma_f64 v[2:3], v[6:7], v[21:22], v[4:5]
	v_fma_f64 v[8:9], v[23:24], v[21:22], v[0:1]
	v_fma_f64 v[4:5], -v[6:7], v[21:22], v[4:5]
	v_fma_f64 v[21:22], v[23:24], v[21:22], -v[0:1]
	s_delay_alu instid0(VALU_DEP_4) | instskip(NEXT) | instid1(VALU_DEP_4)
	v_fma_f64 v[0:1], -v[23:24], v[19:20], v[2:3]
	v_fma_f64 v[2:3], v[6:7], v[19:20], v[8:9]
	s_delay_alu instid0(VALU_DEP_4) | instskip(NEXT) | instid1(VALU_DEP_4)
	v_fma_f64 v[4:5], v[23:24], v[19:20], v[4:5]
	v_fma_f64 v[6:7], v[6:7], v[19:20], v[21:22]
	ds_store_b128 v236, v[0:3] offset:18432
	ds_store_b128 v10, v[4:7] offset:27648
	ds_load_b128 v[0:3], v236 offset:19968
	ds_load_b128 v[4:7], v10 offset:26112
	s_wait_dscnt 0x0
	v_add_f64_e32 v[8:9], v[0:1], v[4:5]
	v_add_f64_e32 v[19:20], v[6:7], v[2:3]
	v_add_f64_e64 v[21:22], v[0:1], -v[4:5]
	v_add_f64_e64 v[0:1], v[2:3], -v[6:7]
	s_wait_loadcnt 0x1
	s_delay_alu instid0(VALU_DEP_2) | instskip(NEXT) | instid1(VALU_DEP_2)
	v_fma_f64 v[2:3], v[21:22], v[17:18], v[8:9]
	v_fma_f64 v[4:5], v[19:20], v[17:18], v[0:1]
	v_fma_f64 v[6:7], -v[21:22], v[17:18], v[8:9]
	v_fma_f64 v[8:9], v[19:20], v[17:18], -v[0:1]
	s_delay_alu instid0(VALU_DEP_4) | instskip(NEXT) | instid1(VALU_DEP_4)
	v_fma_f64 v[0:1], -v[19:20], v[15:16], v[2:3]
	v_fma_f64 v[2:3], v[21:22], v[15:16], v[4:5]
	s_delay_alu instid0(VALU_DEP_4) | instskip(NEXT) | instid1(VALU_DEP_4)
	v_fma_f64 v[4:5], v[19:20], v[15:16], v[6:7]
	v_fma_f64 v[6:7], v[21:22], v[15:16], v[8:9]
	ds_store_b128 v236, v[0:3] offset:19968
	ds_store_b128 v10, v[4:7] offset:26112
	ds_load_b128 v[0:3], v236 offset:21504
	ds_load_b128 v[4:7], v10 offset:24576
	s_wait_dscnt 0x0
	v_add_f64_e32 v[8:9], v[0:1], v[4:5]
	v_add_f64_e32 v[15:16], v[6:7], v[2:3]
	v_add_f64_e64 v[17:18], v[0:1], -v[4:5]
	v_add_f64_e64 v[0:1], v[2:3], -v[6:7]
	s_wait_loadcnt 0x0
	s_delay_alu instid0(VALU_DEP_2) | instskip(NEXT) | instid1(VALU_DEP_2)
	v_fma_f64 v[2:3], v[17:18], v[13:14], v[8:9]
	v_fma_f64 v[4:5], v[15:16], v[13:14], v[0:1]
	v_fma_f64 v[6:7], -v[17:18], v[13:14], v[8:9]
	v_fma_f64 v[8:9], v[15:16], v[13:14], -v[0:1]
	s_delay_alu instid0(VALU_DEP_4) | instskip(NEXT) | instid1(VALU_DEP_4)
	v_fma_f64 v[0:1], -v[15:16], v[11:12], v[2:3]
	v_fma_f64 v[2:3], v[17:18], v[11:12], v[4:5]
	s_delay_alu instid0(VALU_DEP_4) | instskip(NEXT) | instid1(VALU_DEP_4)
	v_fma_f64 v[4:5], v[15:16], v[11:12], v[6:7]
	v_fma_f64 v[6:7], v[17:18], v[11:12], v[8:9]
	ds_store_b128 v236, v[0:3] offset:21504
	ds_store_b128 v10, v[4:7] offset:24576
	global_wb scope:SCOPE_SE
	s_wait_storecnt_dscnt 0x0
	s_barrier_signal -1
	s_barrier_wait -1
	global_inv scope:SCOPE_SE
	global_wb scope:SCOPE_SE
	s_barrier_signal -1
	s_barrier_wait -1
	global_inv scope:SCOPE_SE
	ds_load_b128 v[48:51], v236
	ds_load_b128 v[52:55], v236 offset:1536
	ds_load_b128 v[84:87], v236 offset:9216
	;; [unrolled: 1-line block ×29, first 2 shown]
	s_wait_dscnt 0x1b
	v_add_f64_e32 v[118:119], v[50:51], v[86:87]
	v_add_f64_e32 v[116:117], v[48:49], v[84:85]
	s_wait_dscnt 0x17
	v_add_f64_e32 v[120:121], v[80:81], v[12:13]
	s_wait_dscnt 0x15
	v_add_f64_e32 v[124:125], v[84:85], v[4:5]
	v_add_f64_e32 v[126:127], v[82:83], v[14:15]
	v_add_f64_e32 v[132:133], v[86:87], v[6:7]
	s_wait_dscnt 0x11
	v_add_f64_e32 v[134:135], v[78:79], v[110:111]
	v_add_f64_e32 v[122:123], v[76:77], v[108:109]
	v_add_f64_e64 v[92:93], v[82:83], -v[14:15]
	v_add_f64_e64 v[208:209], v[80:81], -v[84:85]
	;; [unrolled: 1-line block ×4, first 2 shown]
	s_wait_dscnt 0x7
	v_add_f64_e32 v[194:195], v[128:129], v[148:149]
	s_wait_dscnt 0x6
	v_add_f64_e32 v[100:101], v[168:169], v[172:173]
	v_add_f64_e64 v[218:219], v[82:83], -v[86:87]
	v_add_f64_e64 v[220:221], v[6:7], -v[14:15]
	v_add_f64_e32 v[136:137], v[88:89], v[28:29]
	v_add_f64_e32 v[142:143], v[90:91], v[30:31]
	;; [unrolled: 1-line block ×10, first 2 shown]
	s_wait_dscnt 0x3
	v_add_f64_e32 v[212:213], v[178:179], v[46:47]
	v_add_f64_e32 v[237:238], v[68:69], v[24:25]
	;; [unrolled: 1-line block ×6, first 2 shown]
	v_add_f64_e64 v[96:97], v[86:87], -v[6:7]
	v_add_f64_e64 v[86:87], v[90:91], -v[30:31]
	;; [unrolled: 1-line block ×4, first 2 shown]
	v_add_f64_e32 v[202:203], v[176:177], v[44:45]
	s_wait_dscnt 0x1
	v_add_f64_e32 v[210:211], v[148:149], v[36:37]
	v_add_f64_e32 v[146:147], v[118:119], v[82:83]
	;; [unrolled: 1-line block ×4, first 2 shown]
	s_wait_dscnt 0x0
	v_add_f64_e32 v[251:252], v[174:175], v[34:35]
	v_add_f64_e32 v[144:145], v[116:117], v[80:81]
	v_fma_f64 v[116:117], v[120:121], -0.5, v[48:49]
	v_add_f64_e32 v[140:141], v[134:135], v[90:91]
	v_fma_f64 v[124:125], v[124:125], -0.5, v[48:49]
	v_fma_f64 v[118:119], v[126:127], -0.5, v[50:51]
	v_fma_f64 v[126:127], v[132:133], -0.5, v[50:51]
	v_add_f64_e64 v[90:91], v[148:149], -v[176:177]
	v_add_f64_e64 v[48:49], v[176:177], -v[148:149]
	;; [unrolled: 1-line block ×3, first 2 shown]
	v_add_f64_e32 v[176:177], v[194:195], v[176:177]
	v_add_f64_e32 v[194:195], v[100:101], v[196:197]
	v_add_f64_e64 v[100:101], v[14:15], -v[6:7]
	v_add_f64_e64 v[192:193], v[84:85], -v[80:81]
	;; [unrolled: 1-line block ×10, first 2 shown]
	v_add_f64_e32 v[184:185], v[72:73], v[8:9]
	v_add_f64_e64 v[108:109], v[74:75], -v[10:11]
	v_add_f64_e64 v[180:181], v[56:57], -v[72:73]
	;; [unrolled: 1-line block ×5, first 2 shown]
	v_add_f64_e32 v[234:235], v[150:151], v[38:39]
	v_add_f64_e32 v[245:246], v[196:197], v[40:41]
	;; [unrolled: 1-line block ×3, first 2 shown]
	v_add_f64_e64 v[253:254], v[74:75], -v[58:59]
	v_add_f64_e32 v[138:139], v[122:123], v[88:89]
	v_add_f64_e32 v[88:89], v[64:65], v[60:61]
	v_add_f64_e64 v[80:81], v[56:57], -v[0:1]
	v_add_f64_e64 v[56:57], v[178:179], -v[46:47]
	v_add_f64_e32 v[164:165], v[154:155], v[72:73]
	v_add_f64_e32 v[166:167], v[156:157], v[74:75]
	v_fma_f64 v[156:157], v[136:137], -0.5, v[76:77]
	v_fma_f64 v[160:161], v[152:153], -0.5, v[76:77]
	;; [unrolled: 1-line block ×4, first 2 shown]
	v_add_f64_e64 v[78:79], v[150:151], -v[178:179]
	v_fma_f64 v[132:133], v[188:189], -0.5, v[52:53]
	v_fma_f64 v[122:123], v[186:187], -0.5, v[54:55]
	;; [unrolled: 1-line block ×3, first 2 shown]
	v_add_f64_e64 v[188:189], v[178:179], -v[150:151]
	v_add_f64_e64 v[72:73], v[148:149], -v[36:37]
	;; [unrolled: 1-line block ×3, first 2 shown]
	v_fma_f64 v[148:149], v[212:213], -0.5, v[130:131]
	v_fma_f64 v[74:75], v[237:238], -0.5, v[64:65]
	;; [unrolled: 1-line block ×5, first 2 shown]
	v_add_f64_e64 v[190:191], v[62:63], -v[70:71]
	v_add_f64_e32 v[178:179], v[200:201], v[178:179]
	v_add_f64_e64 v[242:243], v[70:71], -v[62:63]
	v_add_f64_e64 v[212:213], v[172:173], -v[196:197]
	;; [unrolled: 1-line block ×3, first 2 shown]
	v_add_f64_e32 v[106:107], v[106:107], v[70:71]
	v_add_f64_e64 v[66:67], v[196:197], -v[40:41]
	v_add_f64_e32 v[196:197], v[82:83], v[198:199]
	v_add_f64_e64 v[70:71], v[172:173], -v[32:33]
	;; [unrolled: 2-line block ×4, first 2 shown]
	v_add_f64_e64 v[54:55], v[150:151], -v[38:39]
	v_fma_f64 v[150:151], v[202:203], -0.5, v[128:129]
	v_fma_f64 v[154:155], v[210:211], -0.5, v[128:129]
	v_add_f64_e64 v[64:65], v[198:199], -v[42:43]
	v_fma_f64 v[128:129], v[247:248], -0.5, v[170:171]
	v_fma_f64 v[142:143], v[251:252], -0.5, v[170:171]
	v_add_f64_e64 v[210:211], v[174:175], -v[198:199]
	v_add_f64_e64 v[202:203], v[198:199], -v[174:175]
	;; [unrolled: 1-line block ×3, first 2 shown]
	v_add_f64_e32 v[170:171], v[218:219], v[100:101]
	v_add_f64_e64 v[100:101], v[38:39], -v[46:47]
	v_add_f64_e64 v[232:233], v[22:23], -v[30:31]
	v_fma_f64 v[120:121], v[184:185], -0.5, v[52:53]
	v_fma_f64 v[158:159], v[234:235], -0.5, v[130:131]
	v_add_f64_e64 v[234:235], v[60:61], -v[68:69]
	v_add_f64_e64 v[184:185], v[68:69], -v[60:61]
	;; [unrolled: 1-line block ×3, first 2 shown]
	v_fma_f64 v[130:131], v[245:246], -0.5, v[168:169]
	v_add_f64_e32 v[244:245], v[88:89], v[68:69]
	v_add_f64_e64 v[68:69], v[174:175], -v[34:35]
	v_add_f64_e32 v[88:89], v[192:193], v[206:207]
	v_add_f64_e64 v[192:193], v[28:29], -v[20:21]
	;; [unrolled: 2-line block ×3, first 2 shown]
	v_add_f64_e64 v[220:221], v[10:11], -v[2:3]
	v_add_f64_e64 v[222:223], v[44:45], -v[36:37]
	;; [unrolled: 1-line block ×4, first 2 shown]
	v_fma_f64 v[136:137], v[249:250], -0.5, v[168:169]
	v_add_f64_e32 v[12:13], v[144:145], v[12:13]
	v_add_f64_e32 v[14:15], v[146:147], v[14:15]
	v_add_f64_e64 v[84:85], v[84:85], -v[4:5]
	v_add_f64_e64 v[58:59], v[58:59], -v[2:3]
	v_add_f64_e32 v[8:9], v[164:165], v[8:9]
	v_add_f64_e32 v[10:11], v[166:167], v[10:11]
	;; [unrolled: 1-line block ×3, first 2 shown]
	v_add_f64_e64 v[216:217], v[46:47], -v[38:39]
	v_add_f64_e32 v[214:215], v[90:91], v[208:209]
	v_add_f64_e64 v[90:91], v[16:17], -v[24:25]
	v_add_f64_e32 v[46:47], v[178:179], v[46:47]
	v_add_f64_e32 v[28:29], v[138:139], v[28:29]
	s_wait_alu 0xfffe
	v_fma_f64 v[178:179], v[92:93], s[6:7], v[124:125]
	v_fma_f64 v[124:125], v[92:93], s[0:1], v[124:125]
	v_add_f64_e32 v[30:31], v[140:141], v[30:31]
	v_add_f64_e32 v[44:45], v[176:177], v[44:45]
	v_fma_f64 v[140:141], v[96:97], s[0:1], v[116:117]
	v_add_f64_e32 v[198:199], v[228:229], v[198:199]
	v_add_f64_e64 v[228:229], v[34:35], -v[42:43]
	v_add_f64_e32 v[208:209], v[78:79], v[100:101]
	v_add_f64_e64 v[78:79], v[18:19], -v[26:27]
	;; [unrolled: 2-line block ×3, first 2 shown]
	v_add_f64_e64 v[232:233], v[40:41], -v[32:33]
	v_add_f64_e32 v[40:41], v[194:195], v[40:41]
	v_fma_f64 v[166:167], v[98:99], s[0:1], v[162:163]
	v_fma_f64 v[176:177], v[86:87], s[6:7], v[160:161]
	v_add_f64_e64 v[62:63], v[62:63], -v[18:19]
	v_add_f64_e32 v[24:25], v[244:245], v[24:25]
	v_fma_f64 v[160:161], v[86:87], s[0:1], v[160:161]
	v_add_f64_e32 v[192:193], v[224:225], v[192:193]
	v_add_f64_e64 v[224:225], v[26:27], -v[18:19]
	v_add_f64_e32 v[180:181], v[180:181], v[206:207]
	v_add_f64_e32 v[206:207], v[253:254], v[220:221]
	;; [unrolled: 1-line block ×3, first 2 shown]
	v_and_b32_e32 v48, 0xff, v104
	v_add_f64_e32 v[26:27], v[106:107], v[26:27]
	v_fma_f64 v[106:107], v[112:113], s[0:1], v[156:157]
	v_add_f64_e32 v[204:205], v[204:205], v[218:219]
	v_fma_f64 v[162:163], v[98:99], s[6:7], v[162:163]
	v_mul_lo_u16 v48, 0xcd, v48
	v_add_f64_e64 v[60:61], v[60:61], -v[16:17]
	v_fma_f64 v[138:139], v[114:115], s[6:7], v[152:153]
	v_fma_f64 v[156:157], v[112:113], s[6:7], v[156:157]
	;; [unrolled: 1-line block ×3, first 2 shown]
	v_add_f64_e32 v[222:223], v[188:189], v[216:217]
	v_lshrrev_b16 v237, 11, v48
	v_add_f64_e32 v[216:217], v[234:235], v[90:91]
	v_add_f64_e64 v[234:235], v[42:43], -v[34:35]
	v_add_f64_e32 v[48:49], v[212:213], v[230:231]
	v_add_nc_u16 v212, v104, 0x60
	v_add_f64_e32 v[42:43], v[196:197], v[42:43]
	v_mul_lo_u16 v90, v237, 10
	v_fma_f64 v[116:117], v[96:97], s[6:7], v[116:117]
	v_add_f64_e32 v[4:5], v[12:13], v[4:5]
	v_add_f64_e32 v[6:7], v[14:15], v[6:7]
	v_fma_f64 v[12:13], v[110:111], s[0:1], v[134:135]
	v_sub_nc_u16 v90, v104, v90
	v_add_f64_e32 v[218:219], v[190:191], v[78:79]
	v_add_f64_e32 v[78:79], v[210:211], v[228:229]
	v_and_b32_e32 v211, 0xff, v212
	v_fma_f64 v[190:191], v[54:55], s[0:1], v[150:151]
	v_and_b32_e32 v210, 0xff, v90
	v_add_f64_e32 v[90:91], v[184:185], v[226:227]
	v_fma_f64 v[226:227], v[108:109], s[6:7], v[132:133]
	v_mul_lo_u16 v100, 0xcd, v211
	v_fma_f64 v[14:15], v[108:109], s[0:1], v[132:133]
	v_fma_f64 v[132:133], v[110:111], s[6:7], v[134:135]
	;; [unrolled: 1-line block ×4, first 2 shown]
	v_lshrrev_b16 v184, 11, v100
	v_add_f64_e32 v[100:101], v[242:243], v[224:225]
	v_fma_f64 v[224:225], v[56:57], s[6:7], v[154:155]
	v_fma_f64 v[154:155], v[50:51], s[6:7], v[158:159]
	;; [unrolled: 1-line block ×10, first 2 shown]
	v_add_f64_e32 v[228:229], v[8:9], v[0:1]
	v_add_f64_e32 v[230:231], v[10:11], v[2:3]
	v_fma_f64 v[2:3], v[66:67], s[0:1], v[142:143]
	v_fma_f64 v[8:9], v[64:65], s[6:7], v[136:137]
	v_add_f64_e32 v[146:147], v[202:203], v[234:235]
	v_fma_f64 v[202:203], v[50:51], s[0:1], v[158:159]
	v_fma_f64 v[158:159], v[68:69], s[0:1], v[130:131]
	;; [unrolled: 3-line block ×4, first 2 shown]
	v_fma_f64 v[128:129], v[70:71], s[0:1], v[128:129]
	v_add_f64_e32 v[32:33], v[40:41], v[32:33]
	v_add_f64_e32 v[34:35], v[42:43], v[34:35]
	v_fma_f64 v[40:41], v[96:97], s[2:3], v[178:179]
	v_fma_f64 v[42:43], v[96:97], s[12:13], v[124:125]
	;; [unrolled: 1-line block ×6, first 2 shown]
	v_add_f64_e32 v[22:23], v[30:31], v[22:23]
	v_fma_f64 v[30:31], v[62:63], s[0:1], v[74:75]
	v_add_f64_e32 v[36:37], v[44:45], v[36:37]
	v_add_f64_e32 v[24:25], v[24:25], v[16:17]
	v_fma_f64 v[16:17], v[52:53], s[0:1], v[240:241]
	v_fma_f64 v[44:45], v[52:53], s[6:7], v[240:241]
	;; [unrolled: 1-line block ×5, first 2 shown]
	v_add_f64_e32 v[144:145], v[200:201], v[232:233]
	v_fma_f64 v[200:201], v[80:81], s[6:7], v[122:123]
	v_fma_f64 v[122:123], v[80:81], s[0:1], v[122:123]
	;; [unrolled: 1-line block ×34, first 2 shown]
	v_add_f64_e32 v[26:27], v[26:27], v[18:19]
	v_fma_f64 v[18:19], v[186:187], s[0:1], v[238:239]
	v_fma_f64 v[130:131], v[198:199], s[10:11], v[140:141]
	v_fma_f64 v[136:137], v[192:193], s[10:11], v[142:143]
	v_fma_f64 v[128:129], v[60:61], s[12:13], v[16:17]
	v_fma_f64 v[44:45], v[60:61], s[2:3], v[44:45]
	v_fma_f64 v[60:61], v[186:187], s[12:13], v[74:75]
	v_fma_f64 v[74:75], v[192:193], s[10:11], v[112:113]
	v_fma_f64 v[112:113], v[198:199], s[10:11], v[114:115]
	v_fma_f64 v[152:153], v[110:111], s[12:13], v[200:201]
	v_fma_f64 v[110:111], v[110:111], s[2:3], v[122:123]
	v_fma_f64 v[122:123], v[52:53], s[12:13], v[0:1]
	v_fma_f64 v[52:53], v[52:53], s[2:3], v[76:77]
	v_fma_f64 v[76:77], v[174:175], s[10:11], v[86:87]
	v_fma_f64 v[86:87], v[168:169], s[10:11], v[98:99]
	v_fma_f64 v[98:99], v[214:215], s[10:11], v[116:117]
	v_fma_f64 v[114:115], v[222:223], s[10:11], v[156:157]
	v_fma_f64 v[116:117], v[220:221], s[10:11], v[160:161]
	v_fma_f64 v[162:163], v[58:59], s[2:3], v[226:227]
	v_fma_f64 v[58:59], v[58:59], s[12:13], v[14:15]
	v_fma_f64 v[96:97], v[62:63], s[2:3], v[10:11]
	v_add_f64_e32 v[8:9], v[228:229], v[36:37]
	v_add_f64_e32 v[10:11], v[230:231], v[38:39]
	v_add_f64_e64 v[12:13], v[228:229], -v[36:37]
	v_add_f64_e64 v[14:15], v[230:231], -v[38:39]
	v_fma_f64 v[36:37], v[220:221], s[10:11], v[54:55]
	v_fma_f64 v[38:39], v[222:223], s[10:11], v[72:73]
	;; [unrolled: 1-line block ×12, first 2 shown]
	v_mul_f64_e32 v[66:67], s[14:15], v[70:71]
	v_mul_f64_e32 v[70:71], s[12:13], v[70:71]
	v_fma_f64 v[62:63], v[62:63], s[12:13], v[18:19]
	v_add_f64_e32 v[0:1], v[4:5], v[20:21]
	v_add_f64_e32 v[2:3], v[6:7], v[22:23]
	v_add_f64_e64 v[4:5], v[4:5], -v[20:21]
	v_add_f64_e64 v[6:7], v[6:7], -v[22:23]
	v_add_f64_e32 v[16:17], v[24:25], v[32:33]
	v_add_f64_e32 v[18:19], v[26:27], v[34:35]
	v_add_f64_e64 v[20:21], v[24:25], -v[32:33]
	v_add_f64_e64 v[22:23], v[26:27], -v[34:35]
	v_mul_f64_e32 v[24:25], s[0:1], v[130:131]
	v_mul_f64_e32 v[26:27], s[6:7], v[136:137]
	v_fma_f64 v[32:33], v[88:89], s[10:11], v[124:125]
	v_mul_f64_e32 v[124:125], s[10:11], v[74:75]
	v_mul_f64_e32 v[132:133], s[10:11], v[112:113]
	v_fma_f64 v[34:35], v[82:83], s[10:11], v[138:139]
	;; [unrolled: 3-line block ×3, first 2 shown]
	v_fma_f64 v[42:43], v[208:209], s[10:11], v[118:119]
	v_mul_f64_e32 v[118:119], s[14:15], v[98:99]
	v_mul_f64_e32 v[98:99], s[12:13], v[98:99]
	v_fma_f64 v[88:89], v[88:89], s[10:11], v[92:93]
	v_mul_f64_e32 v[92:93], s[0:1], v[114:115]
	v_mul_f64_e32 v[144:145], s[6:7], v[116:117]
	v_fma_f64 v[82:83], v[82:83], s[10:11], v[94:95]
	v_fma_f64 v[94:95], v[180:181], s[10:11], v[126:127]
	v_mul_f64_e32 v[126:127], s[10:11], v[36:37]
	v_mul_f64_e32 v[146:147], s[10:11], v[38:39]
	v_fma_f64 v[28:29], v[78:79], s[10:11], v[28:29]
	v_mul_f64_e32 v[78:79], s[14:15], v[54:55]
	v_mul_f64_e32 v[150:151], s[14:15], v[50:51]
	v_fma_f64 v[30:31], v[186:187], s[2:3], v[30:31]
	v_fma_f64 v[148:149], v[182:183], s[10:11], v[152:153]
	v_mul_f64_e32 v[152:153], s[14:15], v[56:57]
	v_mul_f64_e32 v[56:57], s[12:13], v[56:57]
	;; [unrolled: 1-line block ×6, first 2 shown]
	v_fma_f64 v[134:135], v[170:171], s[10:11], v[164:165]
	v_mul_f64_e32 v[164:165], s[14:15], v[48:49]
	v_mul_f64_e32 v[168:169], s[14:15], v[64:65]
	v_fma_f64 v[66:67], v[72:73], s[2:3], v[66:67]
	v_fma_f64 v[70:71], v[72:73], s[14:15], v[70:71]
	;; [unrolled: 1-line block ×9, first 2 shown]
	v_fma_f64 v[58:59], v[112:113], s[0:1], -v[124:125]
	v_fma_f64 v[74:75], v[74:75], s[6:7], -v[132:133]
	;; [unrolled: 1-line block ×4, first 2 shown]
	v_fma_f64 v[124:125], v[90:91], s[10:11], v[96:97]
	v_fma_f64 v[80:81], v[206:207], s[10:11], v[80:81]
	;; [unrolled: 1-line block ×9, first 2 shown]
	v_fma_f64 v[90:91], v[38:39], s[0:1], -v[126:127]
	v_fma_f64 v[114:115], v[36:37], s[6:7], -v[146:147]
	v_fma_f64 v[122:123], v[218:219], s[10:11], v[122:123]
	v_fma_f64 v[116:117], v[50:51], s[2:3], -v[78:79]
	v_fma_f64 v[140:141], v[54:55], s[12:13], -v[150:151]
	v_fma_f64 v[112:113], v[216:217], s[10:11], v[30:31]
	v_fma_f64 v[128:129], v[100:101], s[10:11], v[128:129]
	;; [unrolled: 1-line block ×7, first 2 shown]
	v_fma_f64 v[150:151], v[68:69], s[0:1], -v[158:159]
	v_fma_f64 v[152:153], v[46:47], s[6:7], -v[160:161]
	v_fma_f64 v[126:127], v[216:217], s[10:11], v[60:61]
	v_fma_f64 v[138:139], v[218:219], s[10:11], v[52:53]
	v_fma_f64 v[154:155], v[64:65], s[2:3], -v[164:165]
	v_fma_f64 v[156:157], v[48:49], s[12:13], -v[168:169]
	v_add_f64_e32 v[24:25], v[32:33], v[66:67]
	v_add_f64_e32 v[26:27], v[34:35], v[70:71]
	v_add_f64_e64 v[28:29], v[32:33], -v[66:67]
	v_add_f64_e64 v[30:31], v[34:35], -v[70:71]
	v_add_f64_e32 v[32:33], v[40:41], v[136:137]
	v_add_f64_e32 v[34:35], v[134:135], v[130:131]
	v_add_f64_e64 v[36:37], v[40:41], -v[136:137]
	v_add_f64_e32 v[40:41], v[142:143], v[58:59]
	v_add_f64_e32 v[42:43], v[84:85], v[74:75]
	;; [unrolled: 1-line block ×4, first 2 shown]
	v_add_f64_e64 v[38:39], v[134:135], -v[130:131]
	v_add_f64_e64 v[44:45], v[142:143], -v[58:59]
	;; [unrolled: 1-line block ×5, first 2 shown]
	v_add_f64_e32 v[56:57], v[94:95], v[118:119]
	v_add_f64_e32 v[58:59], v[148:149], v[98:99]
	;; [unrolled: 1-line block ×4, first 2 shown]
	v_add_f64_e64 v[68:69], v[72:73], -v[92:93]
	v_add_f64_e32 v[72:73], v[166:167], v[90:91]
	v_add_f64_e32 v[74:75], v[80:81], v[114:115]
	v_add_f64_e64 v[78:79], v[80:81], -v[114:115]
	v_add_f64_e32 v[80:81], v[108:109], v[116:117]
	v_add_f64_e32 v[82:83], v[110:111], v[140:141]
	v_add_f64_e64 v[60:61], v[94:95], -v[118:119]
	v_add_f64_e64 v[62:63], v[148:149], -v[98:99]
	;; [unrolled: 1-line block ×6, first 2 shown]
	v_add_f64_e32 v[88:89], v[112:113], v[144:145]
	v_add_f64_e32 v[90:91], v[122:123], v[146:147]
	;; [unrolled: 1-line block ×4, first 2 shown]
	v_add_f64_e64 v[92:93], v[112:113], -v[144:145]
	v_add_f64_e32 v[112:113], v[132:133], v[150:151]
	v_add_f64_e32 v[114:115], v[100:101], v[152:153]
	;; [unrolled: 1-line block ×4, first 2 shown]
	v_add_f64_e64 v[94:95], v[122:123], -v[146:147]
	v_add_f64_e64 v[108:109], v[124:125], -v[120:121]
	v_add_f64_e64 v[110:111], v[128:129], -v[106:107]
	v_mul_u32_u24_e32 v185, 10, v104
	v_add_f64_e64 v[120:121], v[132:133], -v[150:151]
	v_add_f64_e64 v[122:123], v[100:101], -v[152:153]
	;; [unrolled: 1-line block ×4, first 2 shown]
	v_lshl_add_u32 v100, v185, 4, 0
	v_mul_lo_u16 v101, v184, 10
	global_wb scope:SCOPE_SE
	s_barrier_signal -1
	s_barrier_wait -1
	global_inv scope:SCOPE_SE
	ds_store_b128 v100, v[0:3]
	ds_store_b128 v100, v[24:27] offset:16
	ds_store_b128 v100, v[32:35] offset:32
	;; [unrolled: 1-line block ×29, first 2 shown]
	v_sub_nc_u16 v8, v212, v101
	v_dual_mov_b32 v101, v105 :: v_dual_add_nc_u32 v110, 0xc0, v104
	v_mul_u32_u24_e32 v213, 5, v210
	global_wb scope:SCOPE_SE
	s_wait_dscnt 0x0
	v_and_b32_e32 v115, 0xff, v8
	s_barrier_signal -1
	v_and_b32_e32 v111, 0xffff, v110
	v_lshlrev_b32_e32 v106, 4, v213
	s_barrier_wait -1
	v_mul_u32_u24_e32 v12, 5, v115
	global_inv scope:SCOPE_SE
	v_mul_u32_u24_e32 v13, 0xcccd, v111
	s_clause 0x1
	global_load_b128 v[8:11], v106, s[4:5] offset:32
	global_load_b128 v[16:19], v106, s[4:5] offset:48
	v_lshlrev_b32_e32 v36, 4, v12
	s_clause 0x1
	global_load_b128 v[0:3], v106, s[4:5]
	global_load_b128 v[4:7], v106, s[4:5] offset:16
	v_lshrrev_b32_e32 v118, 19, v13
	s_clause 0x1
	global_load_b128 v[20:23], v106, s[4:5] offset:64
	global_load_b128 v[12:15], v36, s[4:5]
	v_add_nc_u32_e32 v108, 0x120, v104
	v_or_b32_e32 v112, 0x180, v104
	global_load_b128 v[32:35], v36, s[4:5] offset:32
	v_mul_lo_u16 v24, v118, 10
	global_load_b128 v[80:83], v36, s[4:5] offset:64
	v_and_b32_e32 v113, 0xffff, v108
	v_and_b32_e32 v114, 0xffff, v112
	;; [unrolled: 1-line block ×3, first 2 shown]
	v_sub_nc_u16 v28, v110, v24
	global_load_b128 v[24:27], v36, s[4:5] offset:16
	v_mul_u32_u24_e32 v37, 0xcccd, v113
	v_mul_lo_u16 v116, 0x89, v211
	v_mul_u32_u24_e32 v211, 0x3c0, v151
	v_and_b32_e32 v117, 0xffff, v28
	global_load_b128 v[28:31], v36, s[4:5] offset:48
	v_lshrrev_b32_e32 v122, 19, v37
	v_and_b32_e32 v225, 0xffff, v184
	v_subrev_nc_u32_e32 v100, 60, v104
	v_mul_u32_u24_e32 v38, 5, v117
	v_cmp_gt_u32_e64 s0, 60, v104
	v_mul_lo_u16 v37, v122, 10
	v_mul_u32_u24_e32 v226, 0x3c0, v118
	v_lshlrev_b32_e32 v118, 4, v210
	v_lshlrev_b32_e32 v36, 4, v38
	v_mul_u32_u24_e32 v38, 0xcccd, v114
	v_sub_nc_u16 v37, v108, v37
	s_wait_alu 0xf1ff
	v_cndmask_b32_e64 v109, v100, v104, s0
	v_mul_u32_u24_e32 v227, 0x3c0, v122
	s_clause 0x1
	global_load_b128 v[76:79], v36, s[4:5]
	global_load_b128 v[72:75], v36, s[4:5] offset:16
	v_lshrrev_b32_e32 v120, 19, v38
	v_and_b32_e32 v119, 0xffff, v37
	s_clause 0x2
	global_load_b128 v[64:67], v36, s[4:5] offset:32
	global_load_b128 v[60:63], v36, s[4:5] offset:48
	global_load_b128 v[52:55], v36, s[4:5] offset:64
	v_mul_lo_u16 v37, v120, 10
	v_mul_u32_u24_e32 v38, 5, v119
	v_mul_i32_i24_e32 v100, 5, v109
	v_add3_u32 v211, 0, v211, v118
	s_mov_b32 s2, 0xe8584caa
	v_sub_nc_u16 v37, v112, v37
	v_lshlrev_b32_e32 v40, 4, v38
	s_clause 0x1
	global_load_b128 v[56:59], v40, s[4:5]
	global_load_b128 v[48:51], v40, s[4:5] offset:16
	v_and_b32_e32 v121, 0xffff, v37
	s_clause 0x1
	global_load_b128 v[44:47], v40, s[4:5] offset:32
	global_load_b128 v[36:39], v40, s[4:5] offset:48
	v_lshlrev_b64_e32 v[100:101], 4, v[100:101]
	s_mov_b32 s3, 0x3febb67a
	s_mov_b32 s7, 0xbfebb67a
	v_mul_u32_u24_e32 v41, 5, v121
	v_lshlrev_b32_e32 v228, 4, v121
	s_wait_alu 0xfffe
	s_mov_b32 s6, s2
	v_lshlrev_b32_e32 v115, 4, v115
	v_lshrrev_b16 v116, 13, v116
	v_lshlrev_b32_e32 v96, 4, v41
	s_clause 0x5
	global_load_b128 v[40:43], v40, s[4:5] offset:64
	global_load_b128 v[68:71], v96, s[4:5]
	global_load_b128 v[84:87], v96, s[4:5] offset:16
	global_load_b128 v[88:91], v96, s[4:5] offset:32
	;; [unrolled: 1-line block ×4, first 2 shown]
	ds_load_b128 v[131:134], v236 offset:23040
	ds_load_b128 v[135:138], v236 offset:30720
	;; [unrolled: 1-line block ×18, first 2 shown]
	s_wait_loadcnt_dscnt 0x1811
	v_mul_f64_e32 v[201:202], v[133:134], v[10:11]
	v_mul_f64_e32 v[10:11], v[131:132], v[10:11]
	s_wait_loadcnt_dscnt 0x1710
	v_mul_f64_e32 v[203:204], v[137:138], v[18:19]
	v_mul_f64_e32 v[18:19], v[135:136], v[18:19]
	s_wait_loadcnt_dscnt 0x160f
	v_mul_f64_e32 v[106:107], v[125:126], v[2:3]
	s_wait_loadcnt_dscnt 0x140d
	v_mul_f64_e32 v[205:206], v[141:142], v[22:23]
	v_mul_f64_e32 v[22:23], v[139:140], v[22:23]
	v_mul_f64_e32 v[195:196], v[123:124], v[2:3]
	v_mul_f64_e32 v[199:200], v[129:130], v[6:7]
	v_mul_f64_e32 v[6:7], v[127:128], v[6:7]
	s_wait_loadcnt_dscnt 0x130b
	v_mul_f64_e32 v[207:208], v[149:150], v[14:15]
	v_mul_f64_e32 v[213:214], v[147:148], v[14:15]
	s_wait_loadcnt_dscnt 0x1208
	v_mul_f64_e32 v[209:210], v[161:162], v[34:35]
	s_wait_loadcnt_dscnt 0x1106
	v_mul_f64_e32 v[219:220], v[169:170], v[82:83]
	v_mul_f64_e32 v[82:83], v[167:168], v[82:83]
	v_add_co_u32 v2, s0, s4, v100
	s_wait_alu 0xf1ff
	v_add_co_ci_u32_e64 v3, s0, s5, v101, s0
	s_wait_loadcnt 0x10
	v_mul_f64_e32 v[100:101], v[153:154], v[26:27]
	v_mul_f64_e32 v[26:27], v[151:152], v[26:27]
	;; [unrolled: 1-line block ×3, first 2 shown]
	s_wait_loadcnt 0xf
	v_mul_f64_e32 v[215:216], v[165:166], v[30:31]
	v_mul_f64_e32 v[30:31], v[163:164], v[30:31]
	s_wait_loadcnt_dscnt 0xe04
	v_mul_f64_e32 v[223:224], v[177:178], v[78:79]
	v_mul_f64_e32 v[78:79], v[175:176], v[78:79]
	v_fma_f64 v[201:202], v[131:132], v[8:9], -v[201:202]
	v_fma_f64 v[221:222], v[133:134], v[8:9], v[10:11]
	v_fma_f64 v[134:135], v[135:136], v[16:17], -v[203:204]
	v_fma_f64 v[136:137], v[137:138], v[16:17], v[18:19]
	v_fma_f64 v[106:107], v[123:124], v[0:1], -v[106:107]
	v_fma_f64 v[138:139], v[139:140], v[20:21], -v[205:206]
	v_fma_f64 v[140:141], v[141:142], v[20:21], v[22:23]
	s_wait_loadcnt_dscnt 0xd01
	v_mul_f64_e32 v[22:23], v[189:190], v[74:75]
	v_mul_f64_e32 v[74:75], v[187:188], v[74:75]
	v_fma_f64 v[0:1], v[125:126], v[0:1], v[195:196]
	ds_load_b128 v[122:125], v236 offset:33792
	ds_load_b128 v[195:198], v236 offset:35328
	v_fma_f64 v[199:200], v[127:128], v[4:5], -v[199:200]
	v_fma_f64 v[217:218], v[129:130], v[4:5], v[6:7]
	ds_load_b128 v[4:7], v236 offset:12288
	ds_load_b128 v[8:11], v236 offset:13824
	;; [unrolled: 1-line block ×6, first 2 shown]
	v_fma_f64 v[147:148], v[147:148], v[12:13], -v[207:208]
	v_fma_f64 v[12:13], v[149:150], v[12:13], v[213:214]
	s_wait_loadcnt 0xc
	v_mul_f64_e32 v[149:150], v[181:182], v[66:67]
	v_mul_f64_e32 v[66:67], v[179:180], v[66:67]
	s_wait_loadcnt 0xa
	v_mul_f64_e32 v[203:204], v[185:186], v[54:55]
	v_mul_f64_e32 v[54:55], v[183:184], v[54:55]
	v_fma_f64 v[159:160], v[159:160], v[32:33], -v[209:210]
	v_fma_f64 v[167:168], v[167:168], v[80:81], -v[219:220]
	v_fma_f64 v[80:81], v[169:170], v[80:81], v[82:83]
	v_fma_f64 v[100:101], v[151:152], v[24:25], -v[100:101]
	v_fma_f64 v[151:152], v[153:154], v[24:25], v[26:27]
	v_fma_f64 v[34:35], v[161:162], v[32:33], v[34:35]
	s_wait_loadcnt_dscnt 0x808
	v_mul_f64_e32 v[207:208], v[193:194], v[50:51]
	s_wait_dscnt 0x7
	v_mul_f64_e32 v[153:154], v[124:125], v[62:63]
	v_mul_f64_e32 v[62:63], v[122:123], v[62:63]
	s_wait_loadcnt_dscnt 0x606
	v_mul_f64_e32 v[213:214], v[197:198], v[38:39]
	s_wait_dscnt 0x5
	v_mul_f64_e32 v[161:162], v[6:7], v[58:59]
	s_wait_dscnt 0x3
	v_mul_f64_e32 v[209:210], v[16:17], v[46:47]
	v_mul_f64_e32 v[46:47], v[14:15], v[46:47]
	s_wait_loadcnt_dscnt 0x501
	v_mul_f64_e32 v[82:83], v[20:21], v[42:43]
	v_mul_f64_e32 v[42:43], v[18:19], v[42:43]
	s_wait_loadcnt 0x4
	v_mul_f64_e32 v[169:170], v[10:11], v[70:71]
	v_mul_f64_e32 v[70:71], v[8:9], v[70:71]
	v_fma_f64 v[175:176], v[175:176], v[76:77], -v[223:224]
	v_fma_f64 v[76:77], v[177:178], v[76:77], v[78:79]
	s_wait_loadcnt 0x2
	v_mul_f64_e32 v[177:178], v[128:129], v[90:91]
	v_mul_f64_e32 v[90:91], v[126:127], v[90:91]
	;; [unrolled: 1-line block ×4, first 2 shown]
	v_fma_f64 v[187:188], v[187:188], v[72:73], -v[22:23]
	v_fma_f64 v[72:73], v[189:190], v[72:73], v[74:75]
	s_wait_loadcnt_dscnt 0x0
	v_mul_f64_e32 v[189:190], v[132:133], v[98:99]
	v_mul_f64_e32 v[98:99], v[130:131], v[98:99]
	v_mul_f64_e32 v[74:75], v[173:174], v[94:95]
	v_mul_f64_e32 v[94:95], v[171:172], v[94:95]
	v_mul_f64_e32 v[78:79], v[157:158], v[86:87]
	v_mul_f64_e32 v[50:51], v[191:192], v[50:51]
	v_mul_f64_e32 v[86:87], v[155:156], v[86:87]
	v_mul_u32_u24_e32 v219, 0x3c0, v120
	v_mul_u32_u24_e32 v223, 0x3c0, v225
	v_lshlrev_b32_e32 v224, 4, v117
	v_lshlrev_b32_e32 v225, 4, v119
	v_fma_f64 v[117:118], v[179:180], v[64:65], -v[149:150]
	v_fma_f64 v[64:65], v[181:182], v[64:65], v[66:67]
	v_fma_f64 v[119:120], v[183:184], v[52:53], -v[203:204]
	v_fma_f64 v[52:53], v[185:186], v[52:53], v[54:55]
	v_fma_f64 v[163:164], v[163:164], v[28:29], -v[215:216]
	v_fma_f64 v[165:166], v[165:166], v[28:29], v[30:31]
	ds_load_b128 v[22:25], v236
	ds_load_b128 v[26:29], v236 offset:1536
	v_add_f64_e32 v[149:150], v[12:13], v[34:35]
	v_fma_f64 v[54:55], v[191:192], v[48:49], -v[207:208]
	v_fma_f64 v[66:67], v[122:123], v[60:61], -v[153:154]
	v_fma_f64 v[62:63], v[124:125], v[60:61], v[62:63]
	v_add_f64_e32 v[153:154], v[34:35], v[80:81]
	v_fma_f64 v[4:5], v[4:5], v[56:57], -v[161:162]
	v_fma_f64 v[14:15], v[14:15], v[44:45], -v[209:210]
	v_fma_f64 v[16:17], v[16:17], v[44:45], v[46:47]
	v_fma_f64 v[18:19], v[18:19], v[40:41], -v[82:83]
	v_fma_f64 v[20:21], v[20:21], v[40:41], v[42:43]
	;; [unrolled: 2-line block ×3, first 2 shown]
	v_fma_f64 v[44:45], v[195:196], v[36:37], -v[213:214]
	ds_load_b128 v[30:33], v236 offset:3072
	ds_load_b128 v[58:61], v236 offset:4608
	v_fma_f64 v[42:43], v[126:127], v[88:89], -v[177:178]
	v_fma_f64 v[46:47], v[128:129], v[88:89], v[90:91]
	v_fma_f64 v[6:7], v[6:7], v[56:57], v[205:206]
	v_add_f64_e32 v[90:91], v[201:202], v[138:139]
	v_fma_f64 v[36:37], v[197:198], v[36:37], v[38:39]
	s_wait_dscnt 0x3
	v_add_f64_e32 v[82:83], v[22:23], v[199:200]
	v_fma_f64 v[68:69], v[130:131], v[96:97], -v[189:190]
	v_fma_f64 v[70:71], v[132:133], v[96:97], v[98:99]
	v_add_f64_e32 v[88:89], v[0:1], v[221:222]
	v_fma_f64 v[56:57], v[173:174], v[92:93], v[94:95]
	v_add_f64_e32 v[94:95], v[221:222], v[140:141]
	v_fma_f64 v[38:39], v[155:156], v[84:85], -v[78:79]
	v_add_f64_e32 v[155:156], v[159:160], v[167:168]
	v_fma_f64 v[48:49], v[193:194], v[48:49], v[50:51]
	v_fma_f64 v[40:41], v[157:158], v[84:85], v[86:87]
	v_fma_f64 v[50:51], v[171:172], v[92:93], -v[74:75]
	v_add_f64_e32 v[74:75], v[199:200], v[134:135]
	v_add_f64_e32 v[78:79], v[217:218], v[136:137]
	;; [unrolled: 1-line block ×7, first 2 shown]
	v_add_f64_e64 v[92:93], v[201:202], -v[138:139]
	v_add_f64_e64 v[121:122], v[221:222], -v[140:141]
	v_add_f64_e32 v[125:126], v[151:152], v[165:166]
	s_wait_dscnt 0x2
	v_add_f64_e32 v[127:128], v[26:27], v[100:101]
	v_add_f64_e32 v[131:132], v[147:148], v[159:160]
	v_add_f64_e64 v[157:158], v[159:160], -v[167:168]
	v_add_f64_e32 v[159:160], v[187:188], v[66:67]
	v_add_f64_e32 v[161:162], v[72:73], v[62:63]
	s_wait_dscnt 0x1
	v_add_f64_e32 v[173:174], v[30:31], v[187:188]
	v_add_f64_e32 v[191:192], v[14:15], v[18:19]
	;; [unrolled: 1-line block ×4, first 2 shown]
	v_add_f64_e64 v[34:35], v[34:35], -v[80:81]
	v_add_f64_e32 v[179:180], v[175:176], v[117:118]
	v_fma_f64 v[12:13], v[153:154], -0.5, v[12:13]
	v_add_f64_e32 v[129:130], v[28:29], v[151:152]
	v_add_f64_e64 v[96:97], v[217:218], -v[136:137]
	v_add_f64_e32 v[181:182], v[76:77], v[64:65]
	v_fma_f64 v[90:91], v[90:91], -0.5, v[106:107]
	v_add_f64_e32 v[217:218], v[10:11], v[46:47]
	v_add_f64_e64 v[64:65], v[64:65], -v[52:53]
	v_add_f64_e32 v[207:208], v[42:43], v[68:69]
	v_add_f64_e32 v[205:206], v[46:47], v[70:71]
	v_add_f64_e64 v[98:99], v[199:200], -v[134:135]
	v_add_f64_e32 v[197:198], v[4:5], v[14:15]
	v_fma_f64 v[0:1], v[94:95], -0.5, v[0:1]
	v_add_f64_e64 v[94:95], v[117:118], -v[119:120]
	v_fma_f64 v[117:118], v[155:156], -0.5, v[147:148]
	v_add_f64_e32 v[209:210], v[143:144], v[38:39]
	v_add_f64_e32 v[203:204], v[40:41], v[56:57]
	;; [unrolled: 1-line block ×4, first 2 shown]
	v_add_f64_e64 v[147:148], v[40:41], -v[56:57]
	v_add_f64_e64 v[153:154], v[38:39], -v[50:51]
	;; [unrolled: 1-line block ×3, first 2 shown]
	v_fma_f64 v[40:41], v[169:170], -0.5, v[76:77]
	v_fma_f64 v[46:47], v[171:172], -0.5, v[175:176]
	v_add_f64_e32 v[199:200], v[6:7], v[16:17]
	v_add_f64_e64 v[14:15], v[14:15], -v[18:19]
	v_add_f64_e64 v[16:17], v[16:17], -v[20:21]
	v_add_f64_e32 v[215:216], v[8:9], v[42:43]
	v_add_f64_e64 v[42:43], v[42:43], -v[68:69]
	v_fma_f64 v[26:27], v[123:124], -0.5, v[26:27]
	v_fma_f64 v[22:23], v[74:75], -0.5, v[22:23]
	;; [unrolled: 1-line block ×3, first 2 shown]
	v_add_f64_e32 v[74:75], v[82:83], v[134:135]
	v_add_f64_e32 v[78:79], v[86:87], v[138:139]
	v_fma_f64 v[4:5], v[191:192], -0.5, v[4:5]
	v_fma_f64 v[6:7], v[189:190], -0.5, v[6:7]
	v_add_f64_e64 v[72:73], v[72:73], -v[62:63]
	v_add_f64_e64 v[106:107], v[187:188], -v[66:67]
	v_add_f64_e32 v[76:77], v[84:85], v[136:137]
	v_add_f64_e32 v[82:83], v[88:89], v[140:141]
	v_fma_f64 v[28:29], v[125:126], -0.5, v[28:29]
	v_add_f64_e32 v[84:85], v[127:128], v[163:164]
	v_fma_f64 v[125:126], v[159:160], -0.5, v[30:31]
	v_fma_f64 v[127:128], v[161:162], -0.5, v[32:33]
	v_add_f64_e32 v[30:31], v[173:174], v[66:67]
	v_add_f64_e32 v[32:33], v[177:178], v[62:63]
	v_fma_f64 v[123:124], v[207:208], -0.5, v[8:9]
	v_fma_f64 v[10:11], v[205:206], -0.5, v[10:11]
	v_fma_f64 v[66:67], v[121:122], s[2:3], v[90:91]
	s_wait_alu 0xfffe
	v_fma_f64 v[90:91], v[121:122], s[6:7], v[90:91]
	v_fma_f64 v[62:63], v[92:93], s[6:7], v[0:1]
	;; [unrolled: 1-line block ×5, first 2 shown]
	v_add_f64_e32 v[86:87], v[129:130], v[165:166]
	v_fma_f64 v[117:118], v[34:35], s[6:7], v[117:118]
	v_fma_f64 v[129:130], v[157:158], s[2:3], v[12:13]
	v_add_f64_e32 v[88:89], v[131:132], v[167:168]
	v_add_f64_e32 v[80:81], v[149:150], v[80:81]
	s_wait_dscnt 0x0
	v_add_f64_e32 v[193:194], v[58:59], v[54:55]
	v_fma_f64 v[133:134], v[94:95], s[6:7], v[40:41]
	v_fma_f64 v[135:136], v[64:65], s[2:3], v[46:47]
	v_add_f64_e32 v[195:196], v[60:61], v[48:49]
	v_fma_f64 v[46:47], v[64:65], s[6:7], v[46:47]
	v_fma_f64 v[64:65], v[94:95], s[2:3], v[40:41]
	v_add_f64_e32 v[183:184], v[54:55], v[44:45]
	v_add_f64_e32 v[185:186], v[48:49], v[36:37]
	v_add_f64_e32 v[40:41], v[209:210], v[50:51]
	v_add_f64_e32 v[50:51], v[213:214], v[56:57]
	v_fma_f64 v[137:138], v[201:202], -0.5, v[143:144]
	v_add_f64_e64 v[151:152], v[151:152], -v[165:166]
	v_add_f64_e32 v[119:120], v[179:180], v[119:120]
	v_fma_f64 v[94:95], v[16:17], s[2:3], v[4:5]
	v_fma_f64 v[56:57], v[14:15], s[6:7], v[6:7]
	;; [unrolled: 1-line block ×4, first 2 shown]
	v_add_f64_e32 v[52:53], v[181:182], v[52:53]
	v_fma_f64 v[139:140], v[203:204], -0.5, v[145:146]
	v_add_f64_e32 v[4:5], v[74:75], v[78:79]
	v_add_f64_e64 v[8:9], v[74:75], -v[78:79]
	v_add_f64_e32 v[6:7], v[76:77], v[82:83]
	v_add_f64_e64 v[100:101], v[100:101], -v[163:164]
	;; [unrolled: 2-line block ×3, first 2 shown]
	v_fma_f64 v[149:150], v[38:39], s[2:3], v[123:124]
	v_fma_f64 v[145:146], v[42:43], s[6:7], v[10:11]
	;; [unrolled: 1-line block ×4, first 2 shown]
	v_add_f64_e64 v[10:11], v[76:77], -v[82:83]
	v_mul_f64_e32 v[38:39], s[2:3], v[62:63]
	v_mul_f64_e32 v[76:77], s[6:7], v[66:67]
	v_mul_f64_e32 v[123:124], -0.5, v[90:91]
	v_mul_f64_e32 v[155:156], -0.5, v[0:1]
	v_mul_f64_e32 v[157:158], s[2:3], v[92:93]
	v_mul_f64_e32 v[159:160], s[6:7], v[121:122]
	v_mul_f64_e32 v[161:162], -0.5, v[117:118]
	v_mul_f64_e32 v[163:164], -0.5, v[129:130]
	v_add_f64_e32 v[12:13], v[84:85], v[88:89]
	v_add_f64_e32 v[14:15], v[86:87], v[80:81]
	v_add_f64_e64 v[16:17], v[84:85], -v[88:89]
	v_add_f64_e64 v[18:19], v[86:87], -v[80:81]
	v_mul_f64_e32 v[80:81], s[2:3], v[133:134]
	v_mul_f64_e32 v[84:85], s[6:7], v[135:136]
	v_add_f64_e64 v[54:55], v[54:55], -v[44:45]
	v_add_f64_e32 v[44:45], v[193:194], v[44:45]
	v_add_f64_e32 v[36:37], v[195:196], v[36:37]
	v_add_f64_e32 v[131:132], v[199:200], v[20:21]
	v_mul_f64_e32 v[165:166], -0.5, v[46:47]
	v_mul_f64_e32 v[167:168], -0.5, v[64:65]
	v_fma_f64 v[58:59], v[183:184], -0.5, v[58:59]
	v_fma_f64 v[60:61], v[185:186], -0.5, v[60:61]
	v_mul_f64_e32 v[169:170], s[2:3], v[56:57]
	v_mul_f64_e32 v[171:172], s[6:7], v[94:95]
	v_mul_f64_e32 v[173:174], -0.5, v[141:142]
	v_mul_f64_e32 v[175:176], -0.5, v[143:144]
	v_fma_f64 v[78:79], v[96:97], s[2:3], v[22:23]
	v_fma_f64 v[82:83], v[98:99], s[6:7], v[24:25]
	;; [unrolled: 1-line block ×6, first 2 shown]
	v_add_f64_e32 v[20:21], v[30:31], v[119:120]
	v_add_f64_e32 v[22:23], v[32:33], v[52:53]
	v_add_f64_e64 v[24:25], v[30:31], -v[119:120]
	v_add_f64_e64 v[26:27], v[32:33], -v[52:53]
	v_mul_f64_e32 v[52:53], s[2:3], v[145:146]
	v_mul_f64_e32 v[119:120], s[6:7], v[149:150]
	v_mul_f64_e32 v[177:178], -0.5, v[74:75]
	v_mul_f64_e32 v[179:180], -0.5, v[42:43]
	v_fma_f64 v[66:67], v[66:67], 0.5, v[38:39]
	v_fma_f64 v[62:63], v[62:63], 0.5, v[76:77]
	v_fma_f64 v[0:1], v[0:1], s[2:3], v[123:124]
	v_fma_f64 v[76:77], v[90:91], s[6:7], v[155:156]
	v_add_f64_e32 v[70:71], v[217:218], v[70:71]
	v_fma_f64 v[88:89], v[100:101], s[6:7], v[28:29]
	v_fma_f64 v[90:91], v[121:122], 0.5, v[157:158]
	v_fma_f64 v[92:93], v[92:93], 0.5, v[159:160]
	v_add_f64_e32 v[68:69], v[215:216], v[68:69]
	v_fma_f64 v[100:101], v[100:101], s[2:3], v[28:29]
	v_fma_f64 v[123:124], v[129:130], s[2:3], v[161:162]
	;; [unrolled: 1-line block ×5, first 2 shown]
	v_fma_f64 v[80:81], v[135:136], 0.5, v[80:81]
	v_fma_f64 v[84:85], v[133:134], 0.5, v[84:85]
	v_add_f64_e32 v[28:29], v[44:45], v[34:35]
	v_add_f64_e32 v[30:31], v[36:37], v[131:132]
	v_add_f64_e64 v[32:33], v[44:45], -v[34:35]
	v_add_f64_e64 v[34:35], v[36:37], -v[131:132]
	v_fma_f64 v[125:126], v[72:73], s[6:7], v[125:126]
	v_fma_f64 v[106:107], v[106:107], s[2:3], v[127:128]
	;; [unrolled: 1-line block ×6, first 2 shown]
	v_fma_f64 v[157:158], v[94:95], 0.5, v[169:170]
	v_fma_f64 v[159:160], v[56:57], 0.5, v[171:172]
	v_fma_f64 v[155:156], v[48:49], s[6:7], v[58:59]
	v_fma_f64 v[161:162], v[54:55], s[2:3], v[60:61]
	;; [unrolled: 1-line block ×7, first 2 shown]
	v_fma_f64 v[147:148], v[149:150], 0.5, v[52:53]
	v_fma_f64 v[145:146], v[145:146], 0.5, v[119:120]
	v_fma_f64 v[139:140], v[153:154], s[2:3], v[139:140]
	v_fma_f64 v[149:150], v[42:43], s[2:3], v[177:178]
	;; [unrolled: 1-line block ×3, first 2 shown]
	v_add_f64_e32 v[44:45], v[78:79], v[66:67]
	v_add_f64_e32 v[46:47], v[82:83], v[62:63]
	;; [unrolled: 1-line block ×5, first 2 shown]
	v_add_f64_e64 v[42:43], v[50:51], -v[70:71]
	v_add_f64_e64 v[48:49], v[78:79], -v[66:67]
	;; [unrolled: 1-line block ×5, first 2 shown]
	v_add_f64_e32 v[60:61], v[86:87], v[90:91]
	v_add_f64_e32 v[62:63], v[88:89], v[92:93]
	;; [unrolled: 1-line block ×3, first 2 shown]
	v_add_f64_e64 v[40:41], v[40:41], -v[68:69]
	v_add_f64_e32 v[68:69], v[151:152], v[123:124]
	v_add_f64_e32 v[70:71], v[100:101], v[117:118]
	v_add_f64_e64 v[64:65], v[86:87], -v[90:91]
	v_add_f64_e64 v[66:67], v[88:89], -v[92:93]
	;; [unrolled: 1-line block ×4, first 2 shown]
	v_add_f64_e32 v[76:77], v[121:122], v[80:81]
	v_add_f64_e32 v[78:79], v[129:130], v[84:85]
	v_add_f64_e64 v[82:83], v[129:130], -v[84:85]
	v_add_f64_e32 v[84:85], v[125:126], v[131:132]
	v_add_f64_e32 v[86:87], v[106:107], v[133:134]
	v_add_f64_e64 v[80:81], v[121:122], -v[80:81]
	v_add_f64_e64 v[88:89], v[125:126], -v[131:132]
	;; [unrolled: 1-line block ×3, first 2 shown]
	v_add_f64_e32 v[92:93], v[127:128], v[157:158]
	v_add_f64_e32 v[94:95], v[135:136], v[159:160]
	;; [unrolled: 1-line block ×4, first 2 shown]
	v_add_f64_e64 v[96:97], v[127:128], -v[157:158]
	v_add_f64_e64 v[98:99], v[135:136], -v[159:160]
	;; [unrolled: 1-line block ×4, first 2 shown]
	v_add_f64_e32 v[125:126], v[163:164], v[147:148]
	v_add_f64_e32 v[127:128], v[165:166], v[145:146]
	v_add_f64_e32 v[133:134], v[137:138], v[149:150]
	v_add_f64_e32 v[135:136], v[139:140], v[153:154]
	v_add_f64_e64 v[129:130], v[163:164], -v[147:148]
	v_add_f64_e64 v[131:132], v[165:166], -v[145:146]
	;; [unrolled: 1-line block ×4, first 2 shown]
	v_add3_u32 v1, 0, v226, v224
	v_add3_u32 v0, 0, v223, v115
	;; [unrolled: 1-line block ×4, first 2 shown]
	global_wb scope:SCOPE_SE
	s_barrier_signal -1
	s_barrier_wait -1
	global_inv scope:SCOPE_SE
	ds_store_b128 v211, v[4:7]
	ds_store_b128 v211, v[44:47] offset:160
	ds_store_b128 v211, v[8:11] offset:480
	ds_store_b128 v211, v[52:55] offset:320
	ds_store_b128 v211, v[48:51] offset:640
	ds_store_b128 v211, v[56:59] offset:800
	ds_store_b128 v0, v[12:15]
	ds_store_b128 v0, v[60:63] offset:160
	ds_store_b128 v0, v[68:71] offset:320
	ds_store_b128 v0, v[16:19] offset:480
	ds_store_b128 v0, v[64:67] offset:640
	ds_store_b128 v0, v[72:75] offset:800
	;; [unrolled: 6-line block ×5, first 2 shown]
	v_mul_u32_u24_e32 v1, 0x8889, v111
	v_mul_lo_u16 v220, v116, 60
	global_wb scope:SCOPE_SE
	s_wait_dscnt 0x0
	s_barrier_signal -1
	s_barrier_wait -1
	v_lshrrev_b32_e32 v123, 21, v1
	v_sub_nc_u16 v0, v212, v220
	global_inv scope:SCOPE_SE
	s_clause 0x1
	global_load_b128 v[56:59], v[2:3], off offset:800
	global_load_b128 v[52:55], v[2:3], off offset:816
	v_mul_lo_u16 v1, v123, 60
	v_and_b32_e32 v115, 0xff, v0
	s_clause 0x2
	global_load_b128 v[48:51], v[2:3], off offset:832
	global_load_b128 v[80:83], v[2:3], off offset:848
	;; [unrolled: 1-line block ×3, first 2 shown]
	v_sub_nc_u16 v1, v110, v1
	v_mul_u32_u24_e32 v0, 5, v115
	v_add_nc_u32_e32 v100, 0xffffffb8, v104
	v_or_b32_e32 v167, 0x300, v104
	v_add_nc_u32_e32 v179, 0x360, v104
	v_and_b32_e32 v117, 0xffff, v1
	v_lshlrev_b32_e32 v0, 4, v0
	v_add_nc_u32_e32 v180, 0x3c0, v104
	v_add_nc_u32_e32 v181, 0x420, v104
	v_or_b32_e32 v182, 0x480, v104
	v_mul_u32_u24_e32 v1, 5, v117
	s_clause 0x4
	global_load_b128 v[72:75], v0, s[4:5] offset:800
	global_load_b128 v[68:71], v0, s[4:5] offset:816
	;; [unrolled: 1-line block ×5, first 2 shown]
	v_lshlrev_b32_e32 v0, 4, v1
	v_add_nc_u32_e32 v225, 0x4e0, v104
	v_add_nc_u32_e32 v226, 0x540, v104
	v_and_b32_e32 v121, 0xffff, v180
	v_and_b32_e32 v122, 0xffff, v181
	global_load_b128 v[20:23], v0, s[4:5] offset:864
	v_mul_u32_u24_e32 v2, 0x8889, v113
	s_clause 0x3
	global_load_b128 v[88:91], v0, s[4:5] offset:800
	global_load_b128 v[84:87], v0, s[4:5] offset:816
	;; [unrolled: 1-line block ×4, first 2 shown]
	v_lshrrev_b32_e32 v124, 21, v2
	v_mul_u32_u24_e32 v2, 0x8889, v114
	v_dual_mov_b32 v113, v105 :: v_dual_and_b32 v114, 0xffff, v179
	v_and_b32_e32 v126, 0xffff, v182
	s_delay_alu instid0(VALU_DEP_4) | instskip(NEXT) | instid1(VALU_DEP_4)
	v_mul_lo_u16 v1, v124, 60
	v_lshrrev_b32_e32 v125, 21, v2
	v_and_b32_e32 v127, 0xffff, v225
	v_and_b32_e32 v128, 0xffff, v226
	v_mul_u32_u24_e32 v114, 0x2d83, v114
	v_sub_nc_u16 v1, v108, v1
	v_lshlrev_b32_e32 v129, 4, v109
	v_mul_u32_u24_e32 v121, 0x2d83, v121
	v_mul_u32_u24_e32 v130, 0x2d83, v122
	;; [unrolled: 1-line block ×3, first 2 shown]
	v_and_b32_e32 v119, 0xffff, v1
	v_mul_lo_u16 v1, v125, 60
	v_mul_u32_u24_e32 v127, 0x2d83, v127
	v_mul_u32_u24_e32 v132, 0x2d83, v128
	v_lshrrev_b32_e32 v147, 22, v131
	v_mul_u32_u24_e32 v2, 5, v119
	v_sub_nc_u16 v1, v112, v1
	v_lshrrev_b32_e32 v159, 22, v127
	v_lshrrev_b32_e32 v160, 22, v132
	v_add_nc_u32_e32 v118, 0x2a0, v104
	v_lshlrev_b32_e32 v4, 4, v2
	v_and_b32_e32 v120, 0xffff, v1
	s_clause 0x1
	global_load_b128 v[16:19], v4, s[4:5] offset:800
	global_load_b128 v[12:15], v4, s[4:5] offset:816
	v_mul_u32_u24_e32 v5, 5, v120
	s_clause 0x1
	global_load_b128 v[8:11], v4, s[4:5] offset:832
	global_load_b128 v[0:3], v4, s[4:5] offset:848
	v_mul_lo_u16 v186, 0x168, v147
	v_mul_lo_u16 v227, 0x168, v159
	;; [unrolled: 1-line block ×3, first 2 shown]
	v_lshlrev_b32_e32 v44, 4, v5
	s_clause 0x5
	global_load_b128 v[4:7], v4, s[4:5] offset:864
	global_load_b128 v[28:31], v44, s[4:5] offset:800
	;; [unrolled: 1-line block ×6, first 2 shown]
	scratch_load_b64 v[106:107], off, off offset:8 th:TH_LOAD_LU ; 8-byte Folded Reload
	ds_load_b128 v[135:138], v236 offset:23040
	ds_load_b128 v[139:142], v236 offset:30720
	v_and_b32_e32 v187, 0xffff, v116
	v_mul_u32_u24_e32 v116, 0x1680, v123
	v_mul_u32_u24_e32 v123, 0x1680, v124
	;; [unrolled: 1-line block ×3, first 2 shown]
	v_lshlrev_b32_e32 v115, 4, v115
	v_lshlrev_b32_e32 v117, 4, v117
	ds_load_b128 v[131:134], v236 offset:15360
	s_wait_loadcnt_dscnt 0x1800
	v_mul_f64_e32 v[191:192], v[133:134], v[54:55]
	v_mul_f64_e32 v[193:194], v[131:132], v[54:55]
	v_mul_u32_u24_e32 v54, 0x1680, v187
	s_wait_loadcnt 0x17
	v_mul_f64_e32 v[195:196], v[137:138], v[50:51]
	v_mul_f64_e32 v[197:198], v[135:136], v[50:51]
	s_wait_loadcnt 0x16
	v_mul_f64_e32 v[199:200], v[141:142], v[82:83]
	v_mul_f64_e32 v[82:83], v[139:140], v[82:83]
	v_sub_nc_u16 v51, v182, v186
	v_fma_f64 v[191:192], v[131:132], v[52:53], -v[191:192]
	v_fma_f64 v[52:53], v[133:134], v[52:53], v[193:194]
	v_fma_f64 v[193:194], v[135:136], v[48:49], -v[195:196]
	v_fma_f64 v[195:196], v[137:138], v[48:49], v[197:198]
	;; [unrolled: 2-line block ×3, first 2 shown]
	s_wait_loadcnt 0x0
	v_add_co_u32 v110, s0, s4, v106
	s_wait_alu 0xf1ff
	v_add_co_ci_u32_e64 v111, s0, s5, v107, s0
	v_cmp_lt_u32_e64 s0, 59, v104
	v_and_b32_e32 v107, 0xffff, v118
	s_wait_alu 0xf1ff
	s_delay_alu instid0(VALU_DEP_2) | instskip(SKIP_1) | instid1(VALU_DEP_3)
	v_cndmask_b32_e64 v106, 0, 0x1680, s0
	v_cmp_gt_u32_e64 s0, 0x48, v104
	v_mul_u32_u24_e32 v107, 0x2d83, v107
	s_delay_alu instid0(VALU_DEP_3) | instskip(SKIP_1) | instid1(VALU_DEP_3)
	v_add3_u32 v126, 0, v106, v129
	s_wait_alu 0xf1ff
	v_cndmask_b32_e64 v112, v100, v108, s0
	v_and_b32_e32 v108, 0xffff, v167
	v_lshrrev_b32_e32 v106, 22, v121
	v_lshrrev_b32_e32 v121, 22, v130
	ds_load_b128 v[127:130], v236 offset:7680
	v_lshlrev_b64_e32 v[100:101], 4, v[112:113]
	v_mul_u32_u24_e32 v113, 0x2d83, v108
	v_add_co_u32 v108, s0, s4, v102
	s_wait_alu 0xf1ff
	v_add_co_ci_u32_e64 v109, s0, s5, v103, s0
	s_delay_alu instid0(VALU_DEP_3)
	v_lshrrev_b32_e32 v102, 22, v113
	v_lshrrev_b32_e32 v103, 22, v114
	v_add_co_u32 v113, s0, s4, v100
	s_wait_alu 0xf1ff
	v_add_co_ci_u32_e64 v114, s0, s5, v101, s0
	v_mul_lo_u16 v168, 0x168, v102
	v_mul_lo_u16 v183, 0x168, v103
	ds_load_b128 v[143:146], v236 offset:38400
	ds_load_b128 v[100:103], v236 offset:6144
	;; [unrolled: 1-line block ×4, first 2 shown]
	v_lshrrev_b32_e32 v122, 22, v107
	v_mul_lo_u16 v184, 0x168, v106
	ds_load_b128 v[155:158], v236 offset:21504
	s_wait_dscnt 0x5
	v_mul_f64_e32 v[106:107], v[129:130], v[58:59]
	v_mul_f64_e32 v[58:59], v[127:128], v[58:59]
	ds_load_b128 v[159:162], v236 offset:24576
	ds_load_b128 v[163:166], v236 offset:32256
	v_mul_lo_u16 v185, 0x168, v121
	v_sub_nc_u16 v229, v167, v168
	ds_load_b128 v[167:170], v236 offset:36864
	ds_load_b128 v[171:174], v236 offset:39936
	;; [unrolled: 1-line block ×3, first 2 shown]
	v_sub_nc_u16 v230, v179, v183
	v_sub_nc_u16 v231, v180, v184
	;; [unrolled: 1-line block ×3, first 2 shown]
	ds_load_b128 v[179:182], v236 offset:26112
	ds_load_b128 v[183:186], v236 offset:18432
	ds_load_b128 v[187:190], v236 offset:41472
	v_mul_lo_u16 v125, 0x168, v122
	v_cmp_lt_u32_e64 s0, 0x47, v104
	s_wait_dscnt 0xc
	v_mul_f64_e32 v[201:202], v[145:146], v[78:79]
	v_mul_f64_e32 v[203:204], v[143:144], v[78:79]
	s_wait_dscnt 0xa
	v_mul_f64_e32 v[205:206], v[149:150], v[74:75]
	v_mul_f64_e32 v[207:208], v[147:148], v[74:75]
	;; [unrolled: 3-line block ×3, first 2 shown]
	v_sub_nc_u16 v125, v118, v125
	s_wait_dscnt 0x7
	v_mul_f64_e32 v[213:214], v[161:162], v[66:67]
	v_mul_f64_e32 v[215:216], v[159:160], v[66:67]
	s_wait_dscnt 0x6
	v_mul_f64_e32 v[217:218], v[165:166], v[62:63]
	v_mul_f64_e32 v[62:63], v[163:164], v[62:63]
	;; [unrolled: 3-line block ×5, first 2 shown]
	v_fma_f64 v[106:107], v[127:128], v[56:57], -v[106:107]
	v_fma_f64 v[219:220], v[129:130], v[56:57], v[58:59]
	ds_load_b128 v[55:58], v236 offset:19968
	ds_load_b128 v[127:130], v236 offset:33792
	;; [unrolled: 1-line block ×5, first 2 shown]
	v_fma_f64 v[86:87], v[143:144], v[76:77], -v[201:202]
	v_fma_f64 v[143:144], v[145:146], v[76:77], v[203:204]
	ds_load_b128 v[74:77], v236 offset:13824
	v_mul_f64_e32 v[145:146], v[181:182], v[98:99]
	v_mul_f64_e32 v[98:99], v[179:180], v[98:99]
	v_fma_f64 v[147:148], v[147:148], v[72:73], -v[205:206]
	v_fma_f64 v[149:150], v[149:150], v[72:73], v[207:208]
	ds_load_b128 v[70:73], v236 offset:29184
	v_fma_f64 v[151:152], v[151:152], v[68:69], -v[209:210]
	v_fma_f64 v[153:154], v[153:154], v[68:69], v[211:212]
	ds_load_b128 v[66:69], v236 offset:43008
	ds_load_b128 v[139:142], v236 offset:44544
	s_wait_dscnt 0x7
	v_mul_f64_e32 v[201:202], v[129:130], v[26:27]
	v_fma_f64 v[159:160], v[159:160], v[64:65], -v[213:214]
	v_fma_f64 v[64:65], v[161:162], v[64:65], v[215:216]
	v_mul_f64_e32 v[26:27], v[127:128], v[26:27]
	v_mul_f64_e32 v[161:162], v[189:190], v[22:23]
	;; [unrolled: 1-line block ×5, first 2 shown]
	s_wait_dscnt 0x5
	v_mul_f64_e32 v[213:214], v[137:138], v[10:11]
	v_fma_f64 v[171:172], v[171:172], v[92:93], -v[221:222]
	v_fma_f64 v[92:93], v[173:174], v[92:93], v[94:95]
	v_mul_f64_e32 v[10:11], v[135:136], v[10:11]
	v_mul_f64_e32 v[94:95], v[133:134], v[2:3]
	;; [unrolled: 1-line block ×3, first 2 shown]
	v_fma_f64 v[175:176], v[175:176], v[88:89], -v[48:49]
	v_fma_f64 v[88:89], v[177:178], v[88:89], v[90:91]
	s_wait_dscnt 0x3
	v_mul_f64_e32 v[90:91], v[76:77], v[30:31]
	v_mul_f64_e32 v[30:31], v[74:75], v[30:31]
	s_wait_dscnt 0x1
	v_mul_f64_e32 v[173:174], v[68:69], v[6:7]
	v_mul_f64_e32 v[6:7], v[66:67], v[6:7]
	;; [unrolled: 1-line block ×3, first 2 shown]
	v_fma_f64 v[183:184], v[183:184], v[84:85], -v[197:198]
	v_mul_f64_e32 v[34:35], v[155:156], v[34:35]
	v_mul_f64_e32 v[197:198], v[72:73], v[38:39]
	;; [unrolled: 1-line block ×7, first 2 shown]
	v_and_b32_e32 v19, 0xffff, v125
	v_fma_f64 v[145:146], v[179:180], v[96:97], -v[145:146]
	v_fma_f64 v[96:97], v[181:182], v[96:97], v[98:99]
	s_wait_dscnt 0x0
	v_mul_f64_e32 v[98:99], v[141:142], v[46:47]
	v_mul_f64_e32 v[179:180], v[139:140], v[46:47]
	v_and_b32_e32 v18, 0xffff, v229
	v_and_b32_e32 v125, 0xffff, v230
	;; [unrolled: 1-line block ×3, first 2 shown]
	v_lshlrev_b32_e32 v230, 4, v119
	v_lshlrev_b32_e32 v231, 4, v120
	v_fma_f64 v[119:120], v[127:128], v[24:25], -v[201:202]
	v_fma_f64 v[185:186], v[185:186], v[84:85], v[82:83]
	v_fma_f64 v[127:128], v[129:130], v[24:25], v[26:27]
	v_fma_f64 v[129:130], v[187:188], v[20:21], -v[161:162]
	v_fma_f64 v[20:21], v[189:190], v[20:21], v[203:204]
	v_fma_f64 v[55:56], v[55:56], v[12:13], -v[209:210]
	;; [unrolled: 2-line block ×3, first 2 shown]
	ds_load_b128 v[23:26], v236
	ds_load_b128 v[46:49], v236 offset:1536
	v_add_f64_e32 v[161:162], v[159:160], v[171:172]
	v_fma_f64 v[8:9], v[137:138], v[8:9], v[10:11]
	v_fma_f64 v[10:11], v[131:132], v[0:1], -v[94:95]
	v_fma_f64 v[0:1], v[133:134], v[0:1], v[2:3]
	v_fma_f64 v[163:164], v[163:164], v[60:61], -v[217:218]
	v_fma_f64 v[165:166], v[165:166], v[60:61], v[62:63]
	ds_load_b128 v[59:62], v236 offset:3072
	ds_load_b128 v[82:85], v236 offset:4608
	v_sub_nc_u16 v14, v225, v227
	v_fma_f64 v[2:3], v[66:67], v[4:5], -v[173:174]
	v_fma_f64 v[4:5], v[68:69], v[4:5], v[6:7]
	v_fma_f64 v[6:7], v[74:75], v[28:29], -v[90:91]
	v_fma_f64 v[27:28], v[76:77], v[28:29], v[30:31]
	;; [unrolled: 2-line block ×5, first 2 shown]
	v_add_f64_e32 v[76:77], v[195:196], v[143:144]
	v_add_f64_e32 v[90:91], v[193:194], v[86:87]
	;; [unrolled: 1-line block ×3, first 2 shown]
	v_fma_f64 v[78:79], v[78:79], v[16:17], -v[205:206]
	v_fma_f64 v[41:42], v[139:140], v[44:45], -v[98:99]
	v_fma_f64 v[43:44], v[141:142], v[44:45], v[179:180]
	v_fma_f64 v[15:16], v[80:81], v[16:17], v[207:208]
	v_add_f64_e32 v[66:67], v[191:192], v[199:200]
	s_wait_dscnt 0x3
	v_add_f64_e32 v[70:71], v[23:24], v[191:192]
	v_add_f64_e32 v[72:73], v[25:26], v[52:53]
	v_sub_nc_u16 v22, v226, v228
	v_add_f64_e32 v[68:69], v[52:53], v[223:224]
	v_add_f64_e32 v[74:75], v[106:107], v[193:194]
	;; [unrolled: 1-line block ×5, first 2 shown]
	v_add_f64_e64 v[94:95], v[193:194], -v[86:87]
	v_add_f64_e64 v[131:132], v[195:196], -v[143:144]
	v_add_f64_e32 v[155:156], v[149:150], v[64:65]
	s_wait_dscnt 0x1
	v_add_f64_e32 v[173:174], v[59:60], v[183:184]
	v_add_f64_e32 v[177:178], v[61:62], v[185:186]
	;; [unrolled: 1-line block ×3, first 2 shown]
	v_add_f64_e64 v[159:160], v[159:160], -v[171:172]
	v_add_f64_e64 v[63:64], v[64:65], -v[92:93]
	v_fma_f64 v[147:148], v[161:162], -0.5, v[147:148]
	v_add_f64_e32 v[133:134], v[151:152], v[163:164]
	v_add_f64_e32 v[137:138], v[46:47], v[151:152]
	v_add_f64_e32 v[139:140], v[48:49], v[153:154]
	v_add_f64_e32 v[207:208], v[57:58], v[2:3]
	v_add_f64_e32 v[205:206], v[8:9], v[4:5]
	v_add_f64_e32 v[169:170], v[185:186], v[127:128]
	v_add_f64_e32 v[179:180], v[175:176], v[145:146]
	v_add_f64_e32 v[181:182], v[88:89], v[96:97]
	v_add_f64_e32 v[213:214], v[100:101], v[29:30]
	v_add_f64_e32 v[215:216], v[102:103], v[31:32]
	v_add_f64_e32 v[227:228], v[27:28], v[35:36]
	v_add_f64_e32 v[209:210], v[29:30], v[37:38]
	v_add_f64_e32 v[211:212], v[31:32], v[39:40]
	v_fma_f64 v[76:77], v[76:77], -0.5, v[219:220]
	v_fma_f64 v[90:91], v[90:91], -0.5, v[106:107]
	;; [unrolled: 1-line block ×3, first 2 shown]
	v_add_f64_e64 v[106:107], v[145:146], -v[129:130]
	v_add_f64_e32 v[221:222], v[33:34], v[41:42]
	v_add_f64_e32 v[225:226], v[35:36], v[43:44]
	v_add_f64_e64 v[145:146], v[185:186], -v[127:128]
	v_add_f64_e64 v[96:97], v[96:97], -v[20:21]
	;; [unrolled: 1-line block ×6, first 2 shown]
	v_add_f64_e32 v[191:192], v[55:56], v[10:11]
	s_wait_dscnt 0x0
	v_add_f64_e32 v[195:196], v[82:83], v[55:56]
	v_fma_f64 v[35:36], v[189:190], -0.5, v[175:176]
	v_fma_f64 v[31:32], v[187:188], -0.5, v[88:89]
	v_add_f64_e32 v[201:202], v[78:79], v[57:58]
	v_add_f64_e32 v[203:204], v[15:16], v[8:9]
	v_add_f64_e64 v[57:58], v[57:58], -v[2:3]
	v_add_f64_e64 v[157:158], v[55:56], -v[10:11]
	;; [unrolled: 1-line block ×3, first 2 shown]
	v_fma_f64 v[23:24], v[66:67], -0.5, v[23:24]
	v_add_f64_e32 v[55:56], v[70:71], v[199:200]
	v_add_f64_e32 v[65:66], v[72:73], v[223:224]
	;; [unrolled: 1-line block ×5, first 2 shown]
	v_add_f64_e64 v[33:34], v[33:34], -v[41:42]
	v_fma_f64 v[71:72], v[207:208], -0.5, v[78:79]
	v_fma_f64 v[15:16], v[205:206], -0.5, v[15:16]
	;; [unrolled: 1-line block ×3, first 2 shown]
	v_add_f64_e32 v[67:68], v[74:75], v[86:87]
	v_add_f64_e32 v[167:168], v[183:184], v[119:120]
	v_add_f64_e64 v[183:184], v[183:184], -v[119:120]
	v_add_f64_e32 v[69:70], v[80:81], v[143:144]
	v_add_f64_e32 v[86:87], v[155:156], v[92:93]
	;; [unrolled: 1-line block ×4, first 2 shown]
	v_fma_f64 v[119:120], v[94:95], s[6:7], v[76:77]
	v_fma_f64 v[127:128], v[131:132], s[2:3], v[90:91]
	;; [unrolled: 1-line block ×4, first 2 shown]
	v_fma_f64 v[6:7], v[221:222], -0.5, v[6:7]
	v_fma_f64 v[27:28], v[225:226], -0.5, v[27:28]
	v_fma_f64 v[94:95], v[159:160], s[6:7], v[149:150]
	v_fma_f64 v[131:132], v[63:64], s[2:3], v[147:148]
	v_fma_f64 v[73:74], v[133:134], -0.5, v[46:47]
	v_add_f64_e32 v[45:46], v[137:138], v[163:164]
	v_fma_f64 v[63:64], v[63:64], s[6:7], v[147:148]
	v_fma_f64 v[137:138], v[159:160], s[2:3], v[149:150]
	v_add_f64_e64 v[52:53], v[52:53], -v[223:224]
	v_add_f64_e32 v[78:79], v[139:140], v[165:166]
	v_add_f64_e32 v[80:81], v[141:142], v[171:172]
	v_fma_f64 v[143:144], v[106:107], s[6:7], v[31:32]
	v_fma_f64 v[147:148], v[96:97], s[2:3], v[35:36]
	;; [unrolled: 1-line block ×4, first 2 shown]
	v_add_f64_e32 v[193:194], v[12:13], v[0:1]
	v_add_f64_e64 v[151:152], v[151:152], -v[163:164]
	v_add_f64_e32 v[129:130], v[179:180], v[129:130]
	v_add_f64_e32 v[20:21], v[181:182], v[20:21]
	v_fma_f64 v[61:62], v[169:170], -0.5, v[61:62]
	v_fma_f64 v[47:48], v[135:136], -0.5, v[48:49]
	v_add_f64_e32 v[133:134], v[195:196], v[10:11]
	v_add_f64_e32 v[135:136], v[197:198], v[0:1]
	;; [unrolled: 1-line block ×3, first 2 shown]
	v_fma_f64 v[163:164], v[8:9], s[2:3], v[71:72]
	v_fma_f64 v[159:160], v[57:58], s[6:7], v[15:16]
	;; [unrolled: 1-line block ×4, first 2 shown]
	v_add_f64_e32 v[141:142], v[203:204], v[4:5]
	v_add_f64_e64 v[12:13], v[12:13], -v[0:1]
	v_add_f64_e32 v[0:1], v[55:56], v[67:68]
	v_add_f64_e64 v[4:5], v[55:56], -v[67:68]
	;; [unrolled: 2-line block ×3, first 2 shown]
	v_mul_f64_e32 v[55:56], s[2:3], v[119:120]
	v_add_f64_e32 v[149:150], v[213:214], v[37:38]
	v_mul_f64_e32 v[175:176], -0.5, v[90:91]
	v_mul_f64_e32 v[177:178], -0.5, v[75:76]
	v_fma_f64 v[169:170], v[29:30], s[2:3], v[6:7]
	v_fma_f64 v[57:58], v[33:34], s[6:7], v[27:28]
	;; [unrolled: 1-line block ×4, first 2 shown]
	v_add_f64_e64 v[6:7], v[65:66], -v[69:70]
	v_mul_f64_e32 v[65:66], s[6:7], v[127:128]
	v_add_f64_e32 v[165:166], v[217:218], v[41:42]
	v_mul_f64_e32 v[179:180], s[2:3], v[94:95]
	v_mul_f64_e32 v[181:182], s[6:7], v[131:132]
	v_mul_f64_e32 v[187:188], -0.5, v[63:64]
	v_mul_f64_e32 v[189:190], -0.5, v[137:138]
	v_fma_f64 v[59:60], v[167:168], -0.5, v[59:60]
	v_fma_f64 v[69:70], v[52:53], s[2:3], v[23:24]
	v_fma_f64 v[173:174], v[98:99], s[6:7], v[25:26]
	;; [unrolled: 1-line block ×4, first 2 shown]
	v_add_f64_e32 v[8:9], v[45:46], v[80:81]
	v_add_f64_e32 v[10:11], v[78:79], v[86:87]
	v_add_f64_e64 v[23:24], v[45:46], -v[80:81]
	v_add_f64_e64 v[25:26], v[78:79], -v[86:87]
	v_mul_f64_e32 v[77:78], s[2:3], v[143:144]
	v_mul_f64_e32 v[79:80], s[6:7], v[147:148]
	v_fma_f64 v[82:83], v[191:192], -0.5, v[82:83]
	v_mul_f64_e32 v[86:87], -0.5, v[96:97]
	v_mul_f64_e32 v[191:192], -0.5, v[106:107]
	v_fma_f64 v[84:85], v[193:194], -0.5, v[84:85]
	v_add_f64_e32 v[27:28], v[88:89], v[129:130]
	v_add_f64_e32 v[29:30], v[92:93], v[20:21]
	v_add_f64_e64 v[31:32], v[88:89], -v[129:130]
	v_add_f64_e64 v[33:34], v[92:93], -v[20:21]
	v_mul_f64_e32 v[20:21], s[2:3], v[159:160]
	v_mul_f64_e32 v[88:89], s[6:7], v[163:164]
	v_mul_f64_e32 v[92:93], -0.5, v[71:72]
	v_mul_f64_e32 v[129:130], -0.5, v[15:16]
	v_fma_f64 v[100:101], v[209:210], -0.5, v[100:101]
	v_fma_f64 v[102:103], v[211:212], -0.5, v[102:103]
	v_add_f64_e32 v[155:156], v[215:216], v[39:40]
	v_add_f64_e32 v[35:36], v[133:134], v[139:140]
	;; [unrolled: 1-line block ×3, first 2 shown]
	v_add_f64_e64 v[39:40], v[133:134], -v[139:140]
	v_add_f64_e64 v[41:42], v[135:136], -v[141:142]
	v_mul_f64_e32 v[133:134], s[2:3], v[57:58]
	v_mul_f64_e32 v[135:136], s[6:7], v[169:170]
	v_mul_f64_e32 v[139:140], -0.5, v[67:68]
	v_mul_f64_e32 v[141:142], -0.5, v[171:172]
	v_fma_f64 v[127:128], v[127:128], 0.5, v[55:56]
	v_fma_f64 v[65:66], v[119:120], 0.5, v[65:66]
	v_fma_f64 v[75:76], v[75:76], s[2:3], v[175:176]
	v_fma_f64 v[90:91], v[90:91], s[6:7], v[177:178]
	v_add_f64_e32 v[167:168], v[227:228], v[43:44]
	v_add_f64_e32 v[43:44], v[149:150], v[165:166]
	v_add_f64_e64 v[55:56], v[149:150], -v[165:166]
	v_fma_f64 v[119:120], v[153:154], s[2:3], v[73:74]
	v_fma_f64 v[149:150], v[151:152], s[6:7], v[47:48]
	v_fma_f64 v[131:132], v[131:132], 0.5, v[179:180]
	v_fma_f64 v[94:95], v[94:95], 0.5, v[181:182]
	v_fma_f64 v[153:154], v[153:154], s[6:7], v[73:74]
	v_fma_f64 v[47:48], v[151:152], s[2:3], v[47:48]
	v_fma_f64 v[137:138], v[137:138], s[2:3], v[187:188]
	v_fma_f64 v[165:166], v[63:64], s[6:7], v[189:190]
	v_fma_f64 v[151:152], v[145:146], s[2:3], v[59:60]
	v_fma_f64 v[175:176], v[183:184], s[6:7], v[61:62]
	v_fma_f64 v[147:148], v[147:148], 0.5, v[77:78]
	v_fma_f64 v[143:144], v[143:144], 0.5, v[79:80]
	v_fma_f64 v[145:146], v[145:146], s[6:7], v[59:60]
	v_fma_f64 v[177:178], v[183:184], s[2:3], v[61:62]
	v_fma_f64 v[106:107], v[106:107], s[2:3], v[86:87]
	v_fma_f64 v[181:182], v[96:97], s[6:7], v[191:192]
	;; [unrolled: 8-line block ×3, first 2 shown]
	v_fma_f64 v[163:164], v[161:162], s[2:3], v[100:101]
	v_fma_f64 v[189:190], v[185:186], s[6:7], v[102:103]
	;; [unrolled: 1-line block ×3, first 2 shown]
	v_fma_f64 v[169:170], v[169:170], 0.5, v[133:134]
	v_fma_f64 v[191:192], v[57:58], 0.5, v[135:136]
	v_fma_f64 v[185:186], v[185:186], s[2:3], v[102:103]
	v_fma_f64 v[171:172], v[171:172], s[2:3], v[139:140]
	;; [unrolled: 1-line block ×3, first 2 shown]
	v_add_f64_e32 v[59:60], v[69:70], v[127:128]
	v_add_f64_e32 v[61:62], v[173:174], v[65:66]
	v_add_f64_e64 v[63:64], v[69:70], -v[127:128]
	v_add_f64_e32 v[67:68], v[52:53], v[75:76]
	v_add_f64_e32 v[69:70], v[98:99], v[90:91]
	v_add_f64_e64 v[65:66], v[173:174], -v[65:66]
	v_add_f64_e64 v[71:72], v[52:53], -v[75:76]
	;; [unrolled: 1-line block ×3, first 2 shown]
	v_add_f64_e32 v[75:76], v[119:120], v[131:132]
	v_add_f64_e32 v[77:78], v[149:150], v[94:95]
	v_add_f64_e64 v[79:80], v[119:120], -v[131:132]
	v_add_f64_e64 v[81:82], v[149:150], -v[94:95]
	v_add_f64_e32 v[83:84], v[153:154], v[137:138]
	v_add_f64_e32 v[85:86], v[47:48], v[165:166]
	v_add_f64_e64 v[87:88], v[153:154], -v[137:138]
	v_add_f64_e64 v[89:90], v[47:48], -v[165:166]
	;; [unrolled: 4-line block ×6, first 2 shown]
	v_add_f64_e32 v[45:46], v[155:156], v[167:168]
	v_add_f64_e32 v[147:148], v[163:164], v[169:170]
	;; [unrolled: 1-line block ×3, first 2 shown]
	v_add_f64_e64 v[57:58], v[155:156], -v[167:168]
	v_add_f64_e32 v[155:156], v[161:162], v[171:172]
	v_add_f64_e32 v[157:158], v[185:186], v[193:194]
	v_add_f64_e64 v[151:152], v[163:164], -v[169:170]
	v_add_f64_e64 v[153:154], v[189:190], -v[191:192]
	;; [unrolled: 1-line block ×4, first 2 shown]
	v_add3_u32 v12, 0, v54, v115
	v_add3_u32 v13, 0, v116, v117
	;; [unrolled: 1-line block ×4, first 2 shown]
	global_wb scope:SCOPE_SE
	s_barrier_signal -1
	s_barrier_wait -1
	global_inv scope:SCOPE_SE
	ds_store_b128 v126, v[0:3]
	ds_store_b128 v126, v[59:62] offset:960
	ds_store_b128 v126, v[4:7] offset:2880
	ds_store_b128 v126, v[67:70] offset:1920
	ds_store_b128 v126, v[63:66] offset:3840
	ds_store_b128 v126, v[71:74] offset:4800
	ds_store_b128 v12, v[8:11]
	ds_store_b128 v12, v[75:78] offset:960
	ds_store_b128 v12, v[83:86] offset:1920
	ds_store_b128 v12, v[23:26] offset:2880
	ds_store_b128 v12, v[79:82] offset:3840
	ds_store_b128 v12, v[87:90] offset:4800
	;; [unrolled: 6-line block ×5, first 2 shown]
	global_wb scope:SCOPE_SE
	s_wait_dscnt 0x0
	s_barrier_signal -1
	s_barrier_wait -1
	global_inv scope:SCOPE_SE
	s_clause 0x4
	global_load_b128 v[0:3], v[110:111], off offset:5600
	global_load_b128 v[4:7], v[108:109], off offset:7136
	;; [unrolled: 1-line block ×5, first 2 shown]
	v_and_b32_e32 v48, 0xffff, v14
	global_load_b128 v[12:15], v[113:114], off offset:5600
	v_and_b32_e32 v52, 0xffff, v22
	global_load_b128 v[20:23], v[108:109], off offset:5984
	v_lshlrev_b32_e32 v70, 4, v19
	v_lshlrev_b32_e32 v69, 4, v18
	v_and_b32_e32 v16, 0xffff, v50
	v_lshlrev_b32_e32 v64, 4, v125
	v_lshlrev_b32_e32 v65, 4, v229
	s_clause 0x1
	global_load_b128 v[32:35], v70, s[4:5] offset:5600
	global_load_b128 v[36:39], v69, s[4:5] offset:5600
	v_and_b32_e32 v17, 0xffff, v51
	v_lshlrev_b32_e32 v71, 4, v16
	s_clause 0x1
	global_load_b128 v[40:43], v64, s[4:5] offset:5600
	global_load_b128 v[44:47], v65, s[4:5] offset:5600
	v_lshlrev_b32_e32 v67, 4, v48
	v_lshlrev_b32_e32 v66, 4, v17
	global_load_b128 v[48:51], v71, s[4:5] offset:5600
	v_lshlrev_b32_e32 v68, 4, v52
	s_clause 0x2
	global_load_b128 v[52:55], v66, s[4:5] offset:5600
	global_load_b128 v[16:19], v67, s[4:5] offset:5600
	;; [unrolled: 1-line block ×3, first 2 shown]
	ds_load_b128 v[60:63], v236 offset:23040
	ds_load_b128 v[72:75], v236 offset:24576
	;; [unrolled: 1-line block ×16, first 2 shown]
	v_lshlrev_b32_e32 v199, 4, v112
	ds_load_b128 v[147:150], v236
	ds_load_b128 v[151:154], v236 offset:1536
	ds_load_b128 v[155:158], v236 offset:3072
	;; [unrolled: 1-line block ×5, first 2 shown]
	v_subrev_nc_u32_e32 v197, 48, v104
	s_wait_alu 0xf1ff
	v_cndmask_b32_e64 v198, 0, 0x2d00, s0
	v_cmp_gt_u32_e64 s0, 48, v104
	v_add_nc_u32_e32 v69, 0, v69
	v_add_nc_u32_e32 v64, 0, v64
	;; [unrolled: 1-line block ×6, first 2 shown]
	s_wait_loadcnt_dscnt 0xe15
	v_mul_f64_e32 v[106:107], v[62:63], v[2:3]
	v_mul_f64_e32 v[2:3], v[60:61], v[2:3]
	s_wait_loadcnt_dscnt 0xd14
	v_mul_f64_e32 v[119:120], v[74:75], v[6:7]
	v_mul_f64_e32 v[6:7], v[72:73], v[6:7]
	;; [unrolled: 3-line block ×5, first 2 shown]
	s_wait_dscnt 0x10
	v_mul_f64_e32 v[177:178], v[90:91], v[26:27]
	v_mul_f64_e32 v[26:27], v[88:89], v[26:27]
	s_wait_dscnt 0xf
	v_mul_f64_e32 v[179:180], v[94:95], v[30:31]
	v_mul_f64_e32 v[30:31], v[92:93], v[30:31]
	s_wait_loadcnt_dscnt 0x70e
	v_mul_f64_e32 v[181:182], v[98:99], v[34:35]
	v_mul_f64_e32 v[34:35], v[96:97], v[34:35]
	s_wait_loadcnt_dscnt 0x60d
	;; [unrolled: 3-line block ×8, first 2 shown]
	v_mul_f64_e32 v[195:196], v[141:142], v[58:59]
	v_mul_f64_e32 v[58:59], v[139:140], v[58:59]
	v_fma_f64 v[60:61], v[60:61], v[0:1], -v[106:107]
	v_fma_f64 v[0:1], v[62:63], v[0:1], v[2:3]
	v_fma_f64 v[62:63], v[72:73], v[4:5], -v[119:120]
	v_fma_f64 v[72:73], v[74:75], v[4:5], v[6:7]
	;; [unrolled: 2-line block ×15, first 2 shown]
	ds_load_b128 v[2:5], v236 offset:9216
	ds_load_b128 v[6:9], v236 offset:10752
	;; [unrolled: 1-line block ×8, first 2 shown]
	global_wb scope:SCOPE_SE
	s_wait_dscnt 0x0
	s_barrier_signal -1
	s_barrier_wait -1
	global_inv scope:SCOPE_SE
	v_add_f64_e64 v[34:35], v[147:148], -v[60:61]
	v_add_f64_e64 v[36:37], v[149:150], -v[0:1]
	;; [unrolled: 1-line block ×30, first 2 shown]
	s_wait_alu 0xf1ff
	v_cndmask_b32_e64 v0, v197, v118, s0
	v_mul_u32_u24_e32 v62, 0x2d00, v122
	v_mul_u32_u24_e32 v63, 0x2d00, v121
	v_mov_b32_e32 v1, v105
	v_add3_u32 v106, 0, v198, v199
	s_delay_alu instid0(VALU_DEP_4) | instskip(NEXT) | instid1(VALU_DEP_4)
	v_add3_u32 v62, 0, v62, v70
	v_add3_u32 v63, 0, v63, v71
	v_fma_f64 v[112:113], v[147:148], 2.0, -v[34:35]
	v_fma_f64 v[114:115], v[149:150], 2.0, -v[36:37]
	v_fma_f64 v[116:117], v[151:152], 2.0, -v[38:39]
	v_fma_f64 v[118:119], v[153:154], 2.0, -v[40:41]
	v_fma_f64 v[120:121], v[155:156], 2.0, -v[42:43]
	v_fma_f64 v[122:123], v[157:158], 2.0, -v[44:45]
	v_fma_f64 v[124:125], v[159:160], 2.0, -v[46:47]
	v_fma_f64 v[126:127], v[161:162], 2.0, -v[48:49]
	v_fma_f64 v[128:129], v[163:164], 2.0, -v[50:51]
	v_fma_f64 v[130:131], v[165:166], 2.0, -v[52:53]
	v_fma_f64 v[132:133], v[167:168], 2.0, -v[54:55]
	v_fma_f64 v[134:135], v[169:170], 2.0, -v[56:57]
	v_fma_f64 v[2:3], v[2:3], 2.0, -v[58:59]
	v_fma_f64 v[4:5], v[4:5], 2.0, -v[60:61]
	v_fma_f64 v[6:7], v[6:7], 2.0, -v[72:73]
	v_fma_f64 v[8:9], v[8:9], 2.0, -v[74:75]
	v_fma_f64 v[10:11], v[10:11], 2.0, -v[76:77]
	v_fma_f64 v[12:13], v[12:13], 2.0, -v[78:79]
	v_fma_f64 v[14:15], v[14:15], 2.0, -v[80:81]
	v_fma_f64 v[16:17], v[16:17], 2.0, -v[82:83]
	v_fma_f64 v[18:19], v[18:19], 2.0, -v[84:85]
	v_fma_f64 v[20:21], v[20:21], 2.0, -v[86:87]
	v_fma_f64 v[22:23], v[22:23], 2.0, -v[88:89]
	v_fma_f64 v[24:25], v[24:25], 2.0, -v[90:91]
	v_fma_f64 v[26:27], v[26:27], 2.0, -v[92:93]
	v_fma_f64 v[28:29], v[28:29], 2.0, -v[94:95]
	v_fma_f64 v[30:31], v[30:31], 2.0, -v[96:97]
	v_fma_f64 v[32:33], v[32:33], 2.0, -v[98:99]
	v_fma_f64 v[136:137], v[143:144], 2.0, -v[100:101]
	v_fma_f64 v[138:139], v[145:146], 2.0, -v[102:103]
	ds_store_b128 v236, v[38:41] offset:7296
	ds_store_b128 v236, v[42:45] offset:8832
	ds_store_b128 v236, v[112:115]
	ds_store_b128 v236, v[116:119] offset:1536
	ds_store_b128 v236, v[34:37] offset:5760
	ds_store_b128 v236, v[120:123] offset:3072
	ds_store_b128 v106, v[124:127]
	ds_store_b128 v106, v[46:49] offset:5760
	ds_store_b128 v236, v[128:131] offset:11904
	ds_store_b128 v236, v[132:135] offset:13440
	ds_store_b128 v236, v[50:53] offset:17664
	ds_store_b128 v236, v[2:5] offset:14976
	ds_store_b128 v236, v[54:57] offset:19200
	ds_store_b128 v236, v[58:61] offset:20736
	ds_store_b128 v62, v[6:9]
	ds_store_b128 v62, v[72:75] offset:5760
	ds_store_b128 v69, v[10:13] offset:23040
	ds_store_b128 v69, v[76:79] offset:28800
	ds_store_b128 v64, v[14:17] offset:23040
	;; [unrolled: 8-line block ×3, first 2 shown]
	ds_store_b128 v67, v[96:99] offset:40320
	ds_store_b128 v68, v[136:139] offset:34560
	;; [unrolled: 1-line block ×3, first 2 shown]
	global_wb scope:SCOPE_SE
	s_wait_dscnt 0x0
	s_barrier_signal -1
	s_barrier_wait -1
	global_inv scope:SCOPE_SE
	global_load_b128 v[2:5], v[110:111], off offset:11360
	v_lshlrev_b64_e32 v[22:23], 4, v[0:1]
	s_clause 0x3
	global_load_b128 v[6:9], v[108:109], off offset:12896
	global_load_b128 v[10:13], v[108:109], off offset:14432
	;; [unrolled: 1-line block ×4, first 2 shown]
	v_lshlrev_b32_e32 v0, 4, v0
	v_add_co_u32 v30, s0, s4, v22
	s_wait_alu 0xf1ff
	v_add_co_ci_u32_e64 v31, s0, s5, v23, s0
	s_clause 0x9
	global_load_b128 v[22:25], v[108:109], off offset:19040
	global_load_b128 v[26:29], v[108:109], off offset:20576
	;; [unrolled: 1-line block ×10, first 2 shown]
	ds_load_b128 v[62:65], v236 offset:23040
	ds_load_b128 v[66:69], v236 offset:24576
	;; [unrolled: 1-line block ×16, first 2 shown]
	ds_load_b128 v[136:139], v236
	ds_load_b128 v[140:143], v236 offset:1536
	ds_load_b128 v[144:147], v236 offset:3072
	;; [unrolled: 1-line block ×5, first 2 shown]
	v_cmp_lt_u32_e64 s0, 47, v104
	s_wait_loadcnt_dscnt 0xd14
	v_mul_f64_e32 v[106:107], v[68:69], v[8:9]
	v_mul_f64_e32 v[102:103], v[64:65], v[4:5]
	;; [unrolled: 1-line block ×4, first 2 shown]
	s_wait_loadcnt_dscnt 0xc13
	v_mul_f64_e32 v[160:161], v[72:73], v[12:13]
	v_mul_f64_e32 v[12:13], v[70:71], v[12:13]
	s_wait_loadcnt_dscnt 0xb12
	v_mul_f64_e32 v[162:163], v[76:77], v[16:17]
	v_mul_f64_e32 v[16:17], v[74:75], v[16:17]
	s_wait_loadcnt_dscnt 0xa11
	v_mul_f64_e32 v[164:165], v[80:81], v[20:21]
	v_mul_f64_e32 v[20:21], v[78:79], v[20:21]
	s_wait_loadcnt_dscnt 0x910
	v_mul_f64_e32 v[166:167], v[84:85], v[24:25]
	v_mul_f64_e32 v[24:25], v[82:83], v[24:25]
	s_wait_loadcnt_dscnt 0x80f
	v_mul_f64_e32 v[168:169], v[88:89], v[28:29]
	v_mul_f64_e32 v[28:29], v[86:87], v[28:29]
	s_wait_loadcnt_dscnt 0x70e
	v_mul_f64_e32 v[170:171], v[92:93], v[32:33]
	v_mul_f64_e32 v[32:33], v[90:91], v[32:33]
	s_wait_loadcnt_dscnt 0x60d
	v_mul_f64_e32 v[172:173], v[96:97], v[36:37]
	v_mul_f64_e32 v[36:37], v[94:95], v[36:37]
	s_wait_loadcnt_dscnt 0x50c
	v_mul_f64_e32 v[174:175], v[100:101], v[40:41]
	v_mul_f64_e32 v[40:41], v[98:99], v[40:41]
	s_wait_loadcnt_dscnt 0x40b
	v_mul_f64_e32 v[176:177], v[114:115], v[44:45]
	v_mul_f64_e32 v[44:45], v[112:113], v[44:45]
	s_wait_loadcnt_dscnt 0x30a
	v_mul_f64_e32 v[178:179], v[118:119], v[48:49]
	v_mul_f64_e32 v[48:49], v[116:117], v[48:49]
	s_wait_loadcnt_dscnt 0x209
	v_mul_f64_e32 v[180:181], v[122:123], v[52:53]
	v_mul_f64_e32 v[52:53], v[120:121], v[52:53]
	s_wait_loadcnt_dscnt 0x108
	v_mul_f64_e32 v[182:183], v[126:127], v[56:57]
	v_mul_f64_e32 v[56:57], v[124:125], v[56:57]
	s_wait_loadcnt_dscnt 0x7
	v_mul_f64_e32 v[184:185], v[130:131], v[60:61]
	v_mul_f64_e32 v[60:61], v[128:129], v[60:61]
	v_fma_f64 v[66:67], v[66:67], v[6:7], -v[106:107]
	v_fma_f64 v[62:63], v[62:63], v[2:3], -v[102:103]
	v_fma_f64 v[64:65], v[64:65], v[2:3], v[4:5]
	v_fma_f64 v[68:69], v[68:69], v[6:7], v[8:9]
	v_fma_f64 v[70:71], v[70:71], v[10:11], -v[160:161]
	v_fma_f64 v[72:73], v[72:73], v[10:11], v[12:13]
	v_fma_f64 v[74:75], v[74:75], v[14:15], -v[162:163]
	;; [unrolled: 2-line block ×13, first 2 shown]
	v_fma_f64 v[126:127], v[130:131], v[58:59], v[60:61]
	ds_load_b128 v[1:4], v236 offset:9216
	ds_load_b128 v[5:8], v236 offset:10752
	;; [unrolled: 1-line block ×8, first 2 shown]
	global_wb scope:SCOPE_SE
	s_wait_dscnt 0x0
	s_barrier_signal -1
	s_barrier_wait -1
	global_inv scope:SCOPE_SE
	v_add_f64_e64 v[37:38], v[140:141], -v[66:67]
	v_add_f64_e64 v[33:34], v[136:137], -v[62:63]
	;; [unrolled: 1-line block ×30, first 2 shown]
	s_wait_alu 0xf1ff
	v_cndmask_b32_e64 v101, 0, 0x5a00, s0
	s_delay_alu instid0(VALU_DEP_1)
	v_add3_u32 v0, 0, v101, v0
	v_fma_f64 v[97:98], v[140:141], 2.0, -v[37:38]
	v_fma_f64 v[93:94], v[136:137], 2.0, -v[33:34]
	v_fma_f64 v[95:96], v[138:139], 2.0, -v[35:36]
	v_fma_f64 v[99:100], v[142:143], 2.0, -v[39:40]
	v_fma_f64 v[112:113], v[144:145], 2.0, -v[41:42]
	v_fma_f64 v[114:115], v[146:147], 2.0, -v[43:44]
	v_fma_f64 v[116:117], v[148:149], 2.0, -v[45:46]
	v_fma_f64 v[118:119], v[150:151], 2.0, -v[47:48]
	v_fma_f64 v[120:121], v[152:153], 2.0, -v[49:50]
	v_fma_f64 v[122:123], v[154:155], 2.0, -v[51:52]
	v_fma_f64 v[124:125], v[156:157], 2.0, -v[53:54]
	v_fma_f64 v[126:127], v[158:159], 2.0, -v[55:56]
	v_fma_f64 v[1:2], v[1:2], 2.0, -v[57:58]
	v_fma_f64 v[3:4], v[3:4], 2.0, -v[59:60]
	v_fma_f64 v[5:6], v[5:6], 2.0, -v[61:62]
	v_fma_f64 v[7:8], v[7:8], 2.0, -v[63:64]
	v_fma_f64 v[9:10], v[9:10], 2.0, -v[65:66]
	v_fma_f64 v[11:12], v[11:12], 2.0, -v[67:68]
	v_fma_f64 v[13:14], v[13:14], 2.0, -v[69:70]
	v_fma_f64 v[15:16], v[15:16], 2.0, -v[71:72]
	v_fma_f64 v[17:18], v[17:18], 2.0, -v[73:74]
	v_fma_f64 v[19:20], v[19:20], 2.0, -v[75:76]
	v_fma_f64 v[21:22], v[21:22], 2.0, -v[77:78]
	v_fma_f64 v[23:24], v[23:24], 2.0, -v[79:80]
	v_fma_f64 v[25:26], v[25:26], 2.0, -v[81:82]
	v_fma_f64 v[27:28], v[27:28], 2.0, -v[83:84]
	v_fma_f64 v[29:30], v[29:30], 2.0, -v[85:86]
	v_fma_f64 v[31:32], v[31:32], 2.0, -v[87:88]
	v_fma_f64 v[128:129], v[132:133], 2.0, -v[89:90]
	v_fma_f64 v[130:131], v[134:135], 2.0, -v[91:92]
	ds_store_b128 v236, v[37:40] offset:13056
	ds_store_b128 v236, v[41:44] offset:14592
	;; [unrolled: 1-line block ×6, first 2 shown]
	ds_store_b128 v236, v[93:96]
	ds_store_b128 v236, v[97:100] offset:1536
	ds_store_b128 v236, v[112:115] offset:3072
	;; [unrolled: 1-line block ×7, first 2 shown]
	ds_store_b128 v0, v[5:8]
	ds_store_b128 v0, v[61:64] offset:11520
	ds_store_b128 v236, v[9:12] offset:23808
	;; [unrolled: 1-line block ×15, first 2 shown]
	global_wb scope:SCOPE_SE
	s_wait_dscnt 0x0
	s_barrier_signal -1
	s_barrier_wait -1
	global_inv scope:SCOPE_SE
	s_clause 0xe
	global_load_b128 v[0:3], v[110:111], off offset:22880
	global_load_b128 v[4:7], v[108:109], off offset:24416
	;; [unrolled: 1-line block ×15, first 2 shown]
	ds_load_b128 v[60:63], v236 offset:23040
	ds_load_b128 v[64:67], v236 offset:24576
	;; [unrolled: 1-line block ×16, first 2 shown]
	ds_load_b128 v[128:131], v236
	ds_load_b128 v[132:135], v236 offset:1536
	ds_load_b128 v[136:139], v236 offset:3072
	;; [unrolled: 1-line block ×5, first 2 shown]
	s_wait_loadcnt_dscnt 0xe15
	v_mul_f64_e32 v[106:107], v[62:63], v[2:3]
	v_mul_f64_e32 v[2:3], v[60:61], v[2:3]
	s_wait_loadcnt_dscnt 0xd14
	v_mul_f64_e32 v[152:153], v[66:67], v[6:7]
	v_mul_f64_e32 v[6:7], v[64:65], v[6:7]
	;; [unrolled: 3-line block ×15, first 2 shown]
	v_fma_f64 v[60:61], v[60:61], v[0:1], -v[106:107]
	v_fma_f64 v[62:63], v[62:63], v[0:1], v[2:3]
	v_fma_f64 v[64:65], v[64:65], v[4:5], -v[152:153]
	v_fma_f64 v[66:67], v[66:67], v[4:5], v[6:7]
	;; [unrolled: 2-line block ×15, first 2 shown]
	ds_load_b128 v[0:3], v236 offset:9216
	ds_load_b128 v[4:7], v236 offset:10752
	;; [unrolled: 1-line block ×8, first 2 shown]
	global_wb scope:SCOPE_SE
	s_wait_dscnt 0x0
	s_barrier_signal -1
	s_barrier_wait -1
	global_inv scope:SCOPE_SE
	v_add_f64_e64 v[32:33], v[128:129], -v[60:61]
	v_add_f64_e64 v[34:35], v[130:131], -v[62:63]
	;; [unrolled: 1-line block ×30, first 2 shown]
	v_fma_f64 v[92:93], v[128:129], 2.0, -v[32:33]
	v_fma_f64 v[94:95], v[130:131], 2.0, -v[34:35]
	v_fma_f64 v[96:97], v[132:133], 2.0, -v[36:37]
	v_fma_f64 v[98:99], v[134:135], 2.0, -v[38:39]
	v_fma_f64 v[100:101], v[136:137], 2.0, -v[40:41]
	v_fma_f64 v[102:103], v[138:139], 2.0, -v[42:43]
	v_fma_f64 v[108:109], v[140:141], 2.0, -v[44:45]
	v_fma_f64 v[110:111], v[142:143], 2.0, -v[46:47]
	v_fma_f64 v[112:113], v[144:145], 2.0, -v[48:49]
	v_fma_f64 v[114:115], v[146:147], 2.0, -v[50:51]
	v_fma_f64 v[116:117], v[148:149], 2.0, -v[52:53]
	v_fma_f64 v[118:119], v[150:151], 2.0, -v[54:55]
	v_fma_f64 v[0:1], v[0:1], 2.0, -v[56:57]
	v_fma_f64 v[2:3], v[2:3], 2.0, -v[58:59]
	v_fma_f64 v[4:5], v[4:5], 2.0, -v[60:61]
	v_fma_f64 v[6:7], v[6:7], 2.0, -v[62:63]
	v_fma_f64 v[8:9], v[8:9], 2.0, -v[64:65]
	v_fma_f64 v[10:11], v[10:11], 2.0, -v[66:67]
	v_fma_f64 v[12:13], v[12:13], 2.0, -v[68:69]
	v_fma_f64 v[14:15], v[14:15], 2.0, -v[70:71]
	v_fma_f64 v[16:17], v[16:17], 2.0, -v[72:73]
	v_fma_f64 v[18:19], v[18:19], 2.0, -v[74:75]
	v_fma_f64 v[20:21], v[20:21], 2.0, -v[76:77]
	v_fma_f64 v[22:23], v[22:23], 2.0, -v[78:79]
	v_fma_f64 v[24:25], v[24:25], 2.0, -v[80:81]
	v_fma_f64 v[26:27], v[26:27], 2.0, -v[82:83]
	v_fma_f64 v[28:29], v[28:29], 2.0, -v[84:85]
	v_fma_f64 v[30:31], v[30:31], 2.0, -v[86:87]
	v_fma_f64 v[120:121], v[124:125], 2.0, -v[88:89]
	v_fma_f64 v[122:123], v[126:127], 2.0, -v[90:91]
	ds_store_b128 v236, v[36:39] offset:24576
	ds_store_b128 v236, v[40:43] offset:26112
	;; [unrolled: 1-line block ×14, first 2 shown]
	ds_store_b128 v236, v[92:95]
	ds_store_b128 v236, v[96:99] offset:1536
	ds_store_b128 v236, v[100:103] offset:3072
	;; [unrolled: 1-line block ×15, first 2 shown]
	global_wb scope:SCOPE_SE
	s_wait_dscnt 0x0
	s_barrier_signal -1
	s_barrier_wait -1
	global_inv scope:SCOPE_SE
	s_and_saveexec_b32 s0, vcc_lo
	s_cbranch_execz .LBB0_19
; %bb.18:
	scratch_load_b64 v[0:1], off, off th:TH_LOAD_LU ; 8-byte Folded Reload
	v_lshl_add_u32 v34, v104, 4, 0
	v_dual_mov_b32 v9, v105 :: v_dual_add_nc_u32 v8, 0x60, v104
	v_dual_mov_b32 v11, v105 :: v_dual_add_nc_u32 v10, 0xc0, v104
	;; [unrolled: 1-line block ×3, first 2 shown]
	s_delay_alu instid0(VALU_DEP_3) | instskip(SKIP_1) | instid1(VALU_DEP_4)
	v_lshlrev_b64_e32 v[18:19], 4, v[8:9]
	v_dual_mov_b32 v25, v105 :: v_dual_add_nc_u32 v24, 0x180, v104
	v_lshlrev_b64_e32 v[20:21], 4, v[10:11]
	s_delay_alu instid0(VALU_DEP_4)
	v_lshlrev_b64_e32 v[22:23], 4, v[22:23]
	s_wait_loadcnt 0x0
	v_add_co_u32 v36, vcc_lo, s8, v0
	s_wait_alu 0xfffd
	v_add_co_ci_u32_e32 v37, vcc_lo, s9, v1, vcc_lo
	v_lshlrev_b64_e32 v[0:1], 4, v[104:105]
	s_delay_alu instid0(VALU_DEP_1) | instskip(SKIP_1) | instid1(VALU_DEP_2)
	v_add_co_u32 v16, vcc_lo, v36, v0
	s_wait_alu 0xfffd
	v_add_co_ci_u32_e32 v17, vcc_lo, v37, v1, vcc_lo
	ds_load_b128 v[0:3], v34
	ds_load_b128 v[4:7], v34 offset:1536
	ds_load_b128 v[8:11], v34 offset:3072
	;; [unrolled: 1-line block ×3, first 2 shown]
	v_add_co_u32 v18, vcc_lo, v36, v18
	s_wait_alu 0xfffd
	v_add_co_ci_u32_e32 v19, vcc_lo, v37, v19, vcc_lo
	v_add_co_u32 v20, vcc_lo, v36, v20
	s_wait_alu 0xfffd
	v_add_co_ci_u32_e32 v21, vcc_lo, v37, v21, vcc_lo
	;; [unrolled: 3-line block ×3, first 2 shown]
	s_wait_dscnt 0x3
	global_store_b128 v[16:17], v[0:3], off
	s_wait_dscnt 0x2
	global_store_b128 v[18:19], v[4:7], off
	s_wait_dscnt 0x1
	global_store_b128 v[20:21], v[8:11], off
	s_wait_dscnt 0x0
	global_store_b128 v[22:23], v[12:15], off
	v_lshlrev_b64_e32 v[0:1], 4, v[24:25]
	v_dual_mov_b32 v9, v105 :: v_dual_add_nc_u32 v8, 0x1e0, v104
	v_dual_mov_b32 v11, v105 :: v_dual_add_nc_u32 v10, 0x240, v104
	;; [unrolled: 1-line block ×3, first 2 shown]
	s_delay_alu instid0(VALU_DEP_4)
	v_add_co_u32 v16, vcc_lo, v36, v0
	s_wait_alu 0xfffd
	v_add_co_ci_u32_e32 v17, vcc_lo, v37, v1, vcc_lo
	ds_load_b128 v[0:3], v34 offset:6144
	ds_load_b128 v[4:7], v34 offset:7680
	v_lshlrev_b64_e32 v[18:19], 4, v[8:9]
	v_lshlrev_b64_e32 v[20:21], 4, v[10:11]
	ds_load_b128 v[8:11], v34 offset:9216
	ds_load_b128 v[12:15], v34 offset:10752
	v_lshlrev_b64_e32 v[22:23], 4, v[22:23]
	v_add_nc_u32_e32 v24, 0x300, v104
	v_add_co_u32 v18, vcc_lo, v36, v18
	s_wait_alu 0xfffd
	v_add_co_ci_u32_e32 v19, vcc_lo, v37, v19, vcc_lo
	v_add_co_u32 v20, vcc_lo, v36, v20
	s_wait_alu 0xfffd
	v_add_co_ci_u32_e32 v21, vcc_lo, v37, v21, vcc_lo
	v_add_co_u32 v22, vcc_lo, v36, v22
	s_wait_alu 0xfffd
	v_add_co_ci_u32_e32 v23, vcc_lo, v37, v23, vcc_lo
	s_wait_dscnt 0x3
	global_store_b128 v[16:17], v[0:3], off
	s_wait_dscnt 0x2
	global_store_b128 v[18:19], v[4:7], off
	s_wait_dscnt 0x1
	global_store_b128 v[20:21], v[8:11], off
	s_wait_dscnt 0x0
	global_store_b128 v[22:23], v[12:15], off
	v_mov_b32_e32 v9, v105
	v_lshlrev_b64_e32 v[0:1], 4, v[24:25]
	v_dual_mov_b32 v11, v105 :: v_dual_add_nc_u32 v8, 0x360, v104
	v_dual_mov_b32 v23, v105 :: v_dual_add_nc_u32 v10, 0x3c0, v104
	v_add_nc_u32_e32 v22, 0x420, v104
	s_delay_alu instid0(VALU_DEP_4)
	v_add_co_u32 v16, vcc_lo, v36, v0
	s_wait_alu 0xfffd
	v_add_co_ci_u32_e32 v17, vcc_lo, v37, v1, vcc_lo
	ds_load_b128 v[0:3], v34 offset:12288
	ds_load_b128 v[4:7], v34 offset:13824
	v_lshlrev_b64_e32 v[18:19], 4, v[8:9]
	v_lshlrev_b64_e32 v[20:21], 4, v[10:11]
	ds_load_b128 v[8:11], v34 offset:15360
	ds_load_b128 v[12:15], v34 offset:16896
	v_lshlrev_b64_e32 v[22:23], 4, v[22:23]
	v_add_nc_u32_e32 v24, 0x480, v104
	v_add_co_u32 v18, vcc_lo, v36, v18
	s_wait_alu 0xfffd
	v_add_co_ci_u32_e32 v19, vcc_lo, v37, v19, vcc_lo
	v_add_co_u32 v20, vcc_lo, v36, v20
	s_wait_alu 0xfffd
	v_add_co_ci_u32_e32 v21, vcc_lo, v37, v21, vcc_lo
	v_add_co_u32 v22, vcc_lo, v36, v22
	s_wait_alu 0xfffd
	v_add_co_ci_u32_e32 v23, vcc_lo, v37, v23, vcc_lo
	s_wait_dscnt 0x3
	global_store_b128 v[16:17], v[0:3], off
	s_wait_dscnt 0x2
	global_store_b128 v[18:19], v[4:7], off
	s_wait_dscnt 0x1
	global_store_b128 v[20:21], v[8:11], off
	s_wait_dscnt 0x0
	global_store_b128 v[22:23], v[12:15], off
	v_mov_b32_e32 v11, v105
	v_lshlrev_b64_e32 v[0:1], 4, v[24:25]
	v_dual_mov_b32 v23, v105 :: v_dual_add_nc_u32 v8, 0x4e0, v104
	v_dual_mov_b32 v9, v105 :: v_dual_add_nc_u32 v10, 0x540, v104
	v_add_nc_u32_e32 v22, 0x5a0, v104
	;; [unrolled: 34-line block ×3, first 2 shown]
	s_delay_alu instid0(VALU_DEP_4)
	v_add_co_u32 v16, vcc_lo, v36, v0
	s_wait_alu 0xfffd
	v_add_co_ci_u32_e32 v17, vcc_lo, v37, v1, vcc_lo
	ds_load_b128 v[0:3], v34 offset:24576
	ds_load_b128 v[4:7], v34 offset:26112
	v_lshlrev_b64_e32 v[18:19], 4, v[8:9]
	v_lshlrev_b64_e32 v[20:21], 4, v[10:11]
	ds_load_b128 v[8:11], v34 offset:27648
	ds_load_b128 v[12:15], v34 offset:29184
	v_lshlrev_b64_e32 v[22:23], 4, v[22:23]
	v_add_nc_u32_e32 v24, 0x780, v104
	v_add_co_u32 v18, vcc_lo, v36, v18
	s_wait_alu 0xfffd
	v_add_co_ci_u32_e32 v19, vcc_lo, v37, v19, vcc_lo
	v_add_co_u32 v20, vcc_lo, v36, v20
	s_wait_alu 0xfffd
	v_add_co_ci_u32_e32 v21, vcc_lo, v37, v21, vcc_lo
	;; [unrolled: 3-line block ×3, first 2 shown]
	s_wait_dscnt 0x3
	global_store_b128 v[16:17], v[0:3], off
	s_wait_dscnt 0x2
	global_store_b128 v[18:19], v[4:7], off
	;; [unrolled: 2-line block ×4, first 2 shown]
	v_lshlrev_b64_e32 v[0:1], 4, v[24:25]
	v_dual_mov_b32 v9, v105 :: v_dual_add_nc_u32 v8, 0x7e0, v104
	v_dual_mov_b32 v11, v105 :: v_dual_add_nc_u32 v10, 0x840, v104
	v_add_nc_u32_e32 v22, 0x8a0, v104
	s_delay_alu instid0(VALU_DEP_4)
	v_add_co_u32 v16, vcc_lo, v36, v0
	s_wait_alu 0xfffd
	v_add_co_ci_u32_e32 v17, vcc_lo, v37, v1, vcc_lo
	ds_load_b128 v[0:3], v34 offset:30720
	ds_load_b128 v[4:7], v34 offset:32256
	v_lshlrev_b64_e32 v[18:19], 4, v[8:9]
	v_lshlrev_b64_e32 v[20:21], 4, v[10:11]
	ds_load_b128 v[8:11], v34 offset:33792
	ds_load_b128 v[12:15], v34 offset:35328
	v_dual_mov_b32 v23, v105 :: v_dual_add_nc_u32 v24, 0x900, v104
	v_add_co_u32 v18, vcc_lo, v36, v18
	s_wait_alu 0xfffd
	v_add_co_ci_u32_e32 v19, vcc_lo, v37, v19, vcc_lo
	s_wait_dscnt 0x3
	global_store_b128 v[16:17], v[0:3], off
	s_wait_dscnt 0x2
	global_store_b128 v[18:19], v[4:7], off
	v_mov_b32_e32 v19, v105
	v_lshlrev_b64_e32 v[22:23], 4, v[22:23]
	v_add_co_u32 v20, vcc_lo, v36, v20
	s_wait_alu 0xfffd
	v_add_co_ci_u32_e32 v21, vcc_lo, v37, v21, vcc_lo
	v_add_nc_u32_e32 v2, 0x960, v104
	s_delay_alu instid0(VALU_DEP_4)
	v_add_co_u32 v22, vcc_lo, v36, v22
	v_mov_b32_e32 v3, v105
	s_wait_alu 0xfffd
	v_add_co_ci_u32_e32 v23, vcc_lo, v37, v23, vcc_lo
	v_lshlrev_b64_e32 v[0:1], 4, v[24:25]
	s_wait_dscnt 0x1
	global_store_b128 v[20:21], v[8:11], off
	s_wait_dscnt 0x0
	global_store_b128 v[22:23], v[12:15], off
	v_lshlrev_b64_e32 v[8:9], 4, v[2:3]
	v_dual_mov_b32 v11, v105 :: v_dual_add_nc_u32 v10, 0x9c0, v104
	v_add_co_u32 v24, vcc_lo, v36, v0
	s_wait_alu 0xfffd
	v_add_co_ci_u32_e32 v25, vcc_lo, v37, v1, vcc_lo
	s_delay_alu instid0(VALU_DEP_4)
	v_add_co_u32 v26, vcc_lo, v36, v8
	s_wait_alu 0xfffd
	v_add_co_ci_u32_e32 v27, vcc_lo, v37, v9, vcc_lo
	v_lshlrev_b64_e32 v[8:9], 4, v[10:11]
	v_dual_mov_b32 v17, v105 :: v_dual_add_nc_u32 v16, 0xa20, v104
	v_add_nc_u32_e32 v18, 0xa80, v104
	ds_load_b128 v[0:3], v34 offset:36864
	ds_load_b128 v[4:7], v34 offset:38400
	v_add_nc_u32_e32 v104, 0xae0, v104
	v_add_co_u32 v28, vcc_lo, v36, v8
	s_wait_alu 0xfffd
	v_add_co_ci_u32_e32 v29, vcc_lo, v37, v9, vcc_lo
	ds_load_b128 v[8:11], v34 offset:39936
	ds_load_b128 v[12:15], v34 offset:41472
	v_lshlrev_b64_e32 v[30:31], 4, v[16:17]
	v_lshlrev_b64_e32 v[32:33], 4, v[18:19]
	ds_load_b128 v[16:19], v34 offset:43008
	ds_load_b128 v[20:23], v34 offset:44544
	v_lshlrev_b64_e32 v[34:35], 4, v[104:105]
	v_add_co_u32 v30, vcc_lo, v36, v30
	s_wait_alu 0xfffd
	v_add_co_ci_u32_e32 v31, vcc_lo, v37, v31, vcc_lo
	v_add_co_u32 v32, vcc_lo, v36, v32
	s_wait_alu 0xfffd
	v_add_co_ci_u32_e32 v33, vcc_lo, v37, v33, vcc_lo
	;; [unrolled: 3-line block ×3, first 2 shown]
	s_wait_dscnt 0x5
	global_store_b128 v[24:25], v[0:3], off
	s_wait_dscnt 0x4
	global_store_b128 v[26:27], v[4:7], off
	;; [unrolled: 2-line block ×6, first 2 shown]
.LBB0_19:
	s_nop 0
	s_sendmsg sendmsg(MSG_DEALLOC_VGPRS)
	s_endpgm
	.section	.rodata,"a",@progbits
	.p2align	6, 0x0
	.amdhsa_kernel fft_rtc_fwd_len2880_factors_10_6_6_2_2_2_wgs_96_tpt_96_halfLds_dp_ip_CI_unitstride_sbrr_C2R_dirReg
		.amdhsa_group_segment_fixed_size 0
		.amdhsa_private_segment_fixed_size 20
		.amdhsa_kernarg_size 88
		.amdhsa_user_sgpr_count 2
		.amdhsa_user_sgpr_dispatch_ptr 0
		.amdhsa_user_sgpr_queue_ptr 0
		.amdhsa_user_sgpr_kernarg_segment_ptr 1
		.amdhsa_user_sgpr_dispatch_id 0
		.amdhsa_user_sgpr_private_segment_size 0
		.amdhsa_wavefront_size32 1
		.amdhsa_uses_dynamic_stack 0
		.amdhsa_enable_private_segment 1
		.amdhsa_system_sgpr_workgroup_id_x 1
		.amdhsa_system_sgpr_workgroup_id_y 0
		.amdhsa_system_sgpr_workgroup_id_z 0
		.amdhsa_system_sgpr_workgroup_info 0
		.amdhsa_system_vgpr_workitem_id 0
		.amdhsa_next_free_vgpr 255
		.amdhsa_next_free_sgpr 32
		.amdhsa_reserve_vcc 1
		.amdhsa_float_round_mode_32 0
		.amdhsa_float_round_mode_16_64 0
		.amdhsa_float_denorm_mode_32 3
		.amdhsa_float_denorm_mode_16_64 3
		.amdhsa_fp16_overflow 0
		.amdhsa_workgroup_processor_mode 1
		.amdhsa_memory_ordered 1
		.amdhsa_forward_progress 0
		.amdhsa_round_robin_scheduling 0
		.amdhsa_exception_fp_ieee_invalid_op 0
		.amdhsa_exception_fp_denorm_src 0
		.amdhsa_exception_fp_ieee_div_zero 0
		.amdhsa_exception_fp_ieee_overflow 0
		.amdhsa_exception_fp_ieee_underflow 0
		.amdhsa_exception_fp_ieee_inexact 0
		.amdhsa_exception_int_div_zero 0
	.end_amdhsa_kernel
	.text
.Lfunc_end0:
	.size	fft_rtc_fwd_len2880_factors_10_6_6_2_2_2_wgs_96_tpt_96_halfLds_dp_ip_CI_unitstride_sbrr_C2R_dirReg, .Lfunc_end0-fft_rtc_fwd_len2880_factors_10_6_6_2_2_2_wgs_96_tpt_96_halfLds_dp_ip_CI_unitstride_sbrr_C2R_dirReg
                                        ; -- End function
	.section	.AMDGPU.csdata,"",@progbits
; Kernel info:
; codeLenInByte = 22832
; NumSgprs: 34
; NumVgprs: 255
; ScratchSize: 20
; MemoryBound: 0
; FloatMode: 240
; IeeeMode: 1
; LDSByteSize: 0 bytes/workgroup (compile time only)
; SGPRBlocks: 4
; VGPRBlocks: 31
; NumSGPRsForWavesPerEU: 34
; NumVGPRsForWavesPerEU: 255
; Occupancy: 5
; WaveLimiterHint : 1
; COMPUTE_PGM_RSRC2:SCRATCH_EN: 1
; COMPUTE_PGM_RSRC2:USER_SGPR: 2
; COMPUTE_PGM_RSRC2:TRAP_HANDLER: 0
; COMPUTE_PGM_RSRC2:TGID_X_EN: 1
; COMPUTE_PGM_RSRC2:TGID_Y_EN: 0
; COMPUTE_PGM_RSRC2:TGID_Z_EN: 0
; COMPUTE_PGM_RSRC2:TIDIG_COMP_CNT: 0
	.text
	.p2alignl 7, 3214868480
	.fill 96, 4, 3214868480
	.type	__hip_cuid_c5c7f1620bb60553,@object ; @__hip_cuid_c5c7f1620bb60553
	.section	.bss,"aw",@nobits
	.globl	__hip_cuid_c5c7f1620bb60553
__hip_cuid_c5c7f1620bb60553:
	.byte	0                               ; 0x0
	.size	__hip_cuid_c5c7f1620bb60553, 1

	.ident	"AMD clang version 19.0.0git (https://github.com/RadeonOpenCompute/llvm-project roc-6.4.0 25133 c7fe45cf4b819c5991fe208aaa96edf142730f1d)"
	.section	".note.GNU-stack","",@progbits
	.addrsig
	.addrsig_sym __hip_cuid_c5c7f1620bb60553
	.amdgpu_metadata
---
amdhsa.kernels:
  - .args:
      - .actual_access:  read_only
        .address_space:  global
        .offset:         0
        .size:           8
        .value_kind:     global_buffer
      - .offset:         8
        .size:           8
        .value_kind:     by_value
      - .actual_access:  read_only
        .address_space:  global
        .offset:         16
        .size:           8
        .value_kind:     global_buffer
      - .actual_access:  read_only
        .address_space:  global
        .offset:         24
        .size:           8
        .value_kind:     global_buffer
      - .offset:         32
        .size:           8
        .value_kind:     by_value
      - .actual_access:  read_only
        .address_space:  global
        .offset:         40
        .size:           8
        .value_kind:     global_buffer
      - .actual_access:  read_only
        .address_space:  global
        .offset:         48
        .size:           8
        .value_kind:     global_buffer
      - .offset:         56
        .size:           4
        .value_kind:     by_value
      - .actual_access:  read_only
        .address_space:  global
        .offset:         64
        .size:           8
        .value_kind:     global_buffer
      - .actual_access:  read_only
        .address_space:  global
        .offset:         72
        .size:           8
        .value_kind:     global_buffer
      - .address_space:  global
        .offset:         80
        .size:           8
        .value_kind:     global_buffer
    .group_segment_fixed_size: 0
    .kernarg_segment_align: 8
    .kernarg_segment_size: 88
    .language:       OpenCL C
    .language_version:
      - 2
      - 0
    .max_flat_workgroup_size: 96
    .name:           fft_rtc_fwd_len2880_factors_10_6_6_2_2_2_wgs_96_tpt_96_halfLds_dp_ip_CI_unitstride_sbrr_C2R_dirReg
    .private_segment_fixed_size: 20
    .sgpr_count:     34
    .sgpr_spill_count: 0
    .symbol:         fft_rtc_fwd_len2880_factors_10_6_6_2_2_2_wgs_96_tpt_96_halfLds_dp_ip_CI_unitstride_sbrr_C2R_dirReg.kd
    .uniform_work_group_size: 1
    .uses_dynamic_stack: false
    .vgpr_count:     255
    .vgpr_spill_count: 4
    .wavefront_size: 32
    .workgroup_processor_mode: 1
amdhsa.target:   amdgcn-amd-amdhsa--gfx1201
amdhsa.version:
  - 1
  - 2
...

	.end_amdgpu_metadata
